;; amdgpu-corpus repo=ROCm/rocFFT kind=compiled arch=gfx906 opt=O3
	.text
	.amdgcn_target "amdgcn-amd-amdhsa--gfx906"
	.amdhsa_code_object_version 6
	.protected	bluestein_single_fwd_len1875_dim1_half_op_CI_CI ; -- Begin function bluestein_single_fwd_len1875_dim1_half_op_CI_CI
	.globl	bluestein_single_fwd_len1875_dim1_half_op_CI_CI
	.p2align	8
	.type	bluestein_single_fwd_len1875_dim1_half_op_CI_CI,@function
bluestein_single_fwd_len1875_dim1_half_op_CI_CI: ; @bluestein_single_fwd_len1875_dim1_half_op_CI_CI
; %bb.0:
	s_load_dwordx4 s[16:19], s[4:5], 0x28
	v_mul_u32_u24_e32 v1, 0x20d, v0
	v_lshrrev_b32_e32 v1, 16, v1
	v_lshl_add_u32 v32, s6, 1, v1
	v_mov_b32_e32 v33, 0
	s_waitcnt lgkmcnt(0)
	v_cmp_gt_u64_e32 vcc, s[16:17], v[32:33]
	s_and_saveexec_b64 s[0:1], vcc
	s_cbranch_execz .LBB0_2
; %bb.1:
	s_load_dwordx4 s[8:11], s[4:5], 0x18
	s_load_dwordx4 s[0:3], s[4:5], 0x0
	v_mul_lo_u16_e32 v2, 0x7d, v1
	v_sub_u16_e32 v63, v0, v2
	s_movk_i32 s16, 0x1000
	s_waitcnt lgkmcnt(0)
	s_load_dwordx4 s[12:15], s[8:9], 0x0
	v_mov_b32_e32 v48, 0xffffea84
	v_mov_b32_e32 v97, s3
	s_load_dwordx2 s[4:5], s[4:5], 0x38
	s_waitcnt lgkmcnt(0)
	v_mad_u64_u32 v[2:3], s[6:7], s14, v32, 0
	v_mad_u64_u32 v[4:5], s[6:7], s12, v63, 0
	v_mov_b32_e32 v0, v3
	s_mov_b32 s14, 0xffff
	v_mov_b32_e32 v3, v5
	v_mad_u64_u32 v[5:6], s[6:7], s15, v32, v[0:1]
	v_mad_u64_u32 v[6:7], s[6:7], s13, v63, v[3:4]
	v_mov_b32_e32 v3, v5
	v_lshlrev_b64 v[2:3], 2, v[2:3]
	v_mov_b32_e32 v0, s19
	v_mov_b32_e32 v5, v6
	v_add_co_u32_e32 v6, vcc, s18, v2
	v_addc_co_u32_e32 v0, vcc, v0, v3, vcc
	v_lshlrev_b64 v[2:3], 2, v[4:5]
	s_mul_i32 s6, s13, 0x5dc
	v_add_co_u32_e32 v2, vcc, v6, v2
	s_mul_hi_u32 s7, s12, 0x5dc
	v_addc_co_u32_e32 v3, vcc, v0, v3, vcc
	v_lshlrev_b32_e32 v7, 2, v63
	s_add_i32 s6, s7, s6
	s_mul_i32 s7, s12, 0x5dc
	global_load_dword v6, v[2:3], off
	global_load_dword v65, v7, s[0:1]
	v_mov_b32_e32 v0, s6
	v_add_co_u32_e32 v2, vcc, s7, v2
	v_addc_co_u32_e32 v3, vcc, v3, v0, vcc
	global_load_dword v8, v[2:3], off
	global_load_dword v62, v7, s[0:1] offset:1500
	v_and_b32_e32 v0, 1, v1
	v_mov_b32_e32 v1, 0x1d4c
	v_cmp_eq_u32_e32 vcc, 1, v0
	v_cndmask_b32_e32 v33, 0, v1, vcc
	v_mov_b32_e32 v1, s6
	v_add_co_u32_e32 v0, vcc, s7, v2
	v_addc_co_u32_e32 v1, vcc, v3, v1, vcc
	v_mov_b32_e32 v2, s1
	v_add_co_u32_e32 v70, vcc, s0, v7
	global_load_dword v9, v[0:1], off
	v_addc_co_u32_e32 v71, vcc, 0, v2, vcc
	v_add_co_u32_e32 v35, vcc, s16, v70
	v_addc_co_u32_e32 v36, vcc, 0, v71, vcc
	s_load_dwordx4 s[8:11], s[10:11], 0x0
	global_load_dword v56, v7, s[0:1] offset:500
	global_load_dword v55, v7, s[0:1] offset:2000
	;; [unrolled: 1-line block ×6, first 2 shown]
	v_mov_b32_e32 v2, s6
	v_add_co_u32_e32 v0, vcc, s7, v0
	v_addc_co_u32_e32 v1, vcc, v1, v2, vcc
	v_mov_b32_e32 v3, s6
	v_add_co_u32_e32 v2, vcc, s7, v0
	global_load_dword v60, v[35:36], off offset:404
	global_load_dword v58, v[35:36], off offset:1904
	v_addc_co_u32_e32 v3, vcc, v1, v3, vcc
	global_load_dword v11, v[0:1], off
	global_load_dword v12, v[2:3], off
	v_mad_u64_u32 v[4:5], s[16:17], s12, v48, v[2:3]
	s_mulk_i32 s13, 0xea84
	s_sub_i32 s18, s13, s12
	v_add_u32_e32 v5, s18, v5
	global_load_dword v2, v[4:5], off
	v_mov_b32_e32 v10, s6
	v_add_co_u32_e32 v0, vcc, s7, v4
	v_addc_co_u32_e32 v1, vcc, v5, v10, vcc
	v_mov_b32_e32 v13, s6
	v_mov_b32_e32 v14, s6
	v_add_u32_e32 v45, v33, v7
	v_mov_b32_e32 v16, s6
	v_mov_b32_e32 v17, s6
	v_add_u32_e32 v59, 0x600, v45
	v_add_u32_e32 v57, 0x1200, v45
	;; [unrolled: 1-line block ×6, first 2 shown]
	s_movk_i32 s15, 0x7d
	s_waitcnt vmcnt(15)
	v_lshrrev_b32_e32 v3, 16, v6
	s_waitcnt vmcnt(14)
	v_mul_f16_sdwa v4, v65, v6 dst_sel:DWORD dst_unused:UNUSED_PAD src0_sel:WORD_1 src1_sel:DWORD
	v_mul_f16_sdwa v5, v65, v3 dst_sel:DWORD dst_unused:UNUSED_PAD src0_sel:WORD_1 src1_sel:DWORD
	v_fma_f16 v3, v65, v3, -v4
	v_fma_f16 v5, v65, v6, v5
	v_pack_b32_f16 v3, v5, v3
	s_waitcnt vmcnt(13)
	v_lshrrev_b32_e32 v4, 16, v8
	s_waitcnt vmcnt(12)
	v_mul_f16_sdwa v6, v62, v4 dst_sel:DWORD dst_unused:UNUSED_PAD src0_sel:WORD_1 src1_sel:DWORD
	v_fma_f16 v5, v62, v8, v6
	global_load_dword v6, v[0:1], off
	v_mul_f16_sdwa v10, v62, v8 dst_sel:DWORD dst_unused:UNUSED_PAD src0_sel:WORD_1 src1_sel:DWORD
	v_mov_b32_e32 v8, s6
	v_add_co_u32_e32 v0, vcc, s7, v0
	v_addc_co_u32_e32 v1, vcc, v1, v8, vcc
	global_load_dword v8, v[0:1], off
	v_add_co_u32_e32 v0, vcc, s7, v0
	v_addc_co_u32_e32 v1, vcc, v1, v13, vcc
	global_load_dword v13, v[0:1], off
	global_load_dword v54, v[35:36], off offset:904
	v_add_co_u32_e32 v0, vcc, s7, v0
	v_addc_co_u32_e32 v1, vcc, v1, v14, vcc
	global_load_dword v14, v[0:1], off
	global_load_dword v52, v[35:36], off offset:2404
	v_mad_u64_u32 v[0:1], s[12:13], s12, v48, v[0:1]
	v_fma_f16 v4, v62, v4, -v10
	v_pack_b32_f16 v4, v5, v4
	v_add_u32_e32 v1, s18, v1
	ds_write_b32 v45, v4 offset:1500
	global_load_dword v4, v[0:1], off
	v_mov_b32_e32 v10, s6
	v_add_co_u32_e32 v0, vcc, s7, v0
	v_addc_co_u32_e32 v1, vcc, v1, v10, vcc
	global_load_dword v10, v[0:1], off
	v_add_co_u32_e32 v0, vcc, s7, v0
	v_addc_co_u32_e32 v1, vcc, v1, v16, vcc
	global_load_dword v16, v[0:1], off
	global_load_dword v49, v7, s[0:1] offset:4000
	v_mov_b32_e32 v7, s6
	v_add_co_u32_e32 v0, vcc, s7, v0
	v_addc_co_u32_e32 v1, vcc, v1, v7, vcc
	global_load_dword v7, v[0:1], off
	global_load_dword v46, v[35:36], off offset:2904
	global_load_dword v47, v[35:36], off offset:1404
	v_add_co_u32_e32 v0, vcc, s7, v0
	v_addc_co_u32_e32 v1, vcc, v1, v17, vcc
	global_load_dword v0, v[0:1], off
	s_waitcnt vmcnt(25)
	v_lshrrev_b32_e32 v5, 16, v9
	s_waitcnt vmcnt(21)
	v_mul_f16_sdwa v15, v61, v5 dst_sel:DWORD dst_unused:UNUSED_PAD src0_sel:WORD_1 src1_sel:DWORD
	v_fma_f16 v15, v61, v9, v15
	v_mul_f16_sdwa v9, v61, v9 dst_sel:DWORD dst_unused:UNUSED_PAD src0_sel:WORD_1 src1_sel:DWORD
	v_fma_f16 v1, v61, v5, -v9
	v_pack_b32_f16 v1, v15, v1
	ds_write_b32 v45, v1 offset:3000
	s_waitcnt vmcnt(16)
	v_lshrrev_b32_e32 v1, 16, v11
	v_mul_f16_sdwa v5, v60, v1 dst_sel:DWORD dst_unused:UNUSED_PAD src0_sel:WORD_1 src1_sel:DWORD
	v_mul_f16_sdwa v9, v60, v11 dst_sel:DWORD dst_unused:UNUSED_PAD src0_sel:WORD_1 src1_sel:DWORD
	v_fma_f16 v5, v60, v11, v5
	v_fma_f16 v1, v60, v1, -v9
	v_pack_b32_f16 v1, v5, v1
	ds_write_b32 v45, v1 offset:4500
	s_waitcnt vmcnt(15)
	v_lshrrev_b32_e32 v1, 16, v12
	v_mul_f16_sdwa v5, v58, v1 dst_sel:DWORD dst_unused:UNUSED_PAD src0_sel:WORD_1 src1_sel:DWORD
	v_mul_f16_sdwa v9, v58, v12 dst_sel:DWORD dst_unused:UNUSED_PAD src0_sel:WORD_1 src1_sel:DWORD
	v_fma_f16 v5, v58, v12, v5
	v_fma_f16 v1, v58, v1, -v9
	v_pack_b32_f16 v1, v5, v1
	ds_write_b32 v45, v1 offset:6000
	s_waitcnt vmcnt(14)
	v_lshrrev_b32_e32 v1, 16, v2
	v_mul_f16_sdwa v5, v56, v1 dst_sel:DWORD dst_unused:UNUSED_PAD src0_sel:WORD_1 src1_sel:DWORD
	v_fma_f16 v5, v56, v2, v5
	v_mul_f16_sdwa v2, v56, v2 dst_sel:DWORD dst_unused:UNUSED_PAD src0_sel:WORD_1 src1_sel:DWORD
	v_fma_f16 v1, v56, v1, -v2
	v_pack_b32_f16 v1, v5, v1
	ds_write2_b32 v45, v3, v1 offset1:125
	s_movk_i32 s0, 0x3b9c
	s_movk_i32 s1, 0x38b4
	;; [unrolled: 1-line block ×3, first 2 shown]
	v_add_co_u32_e32 v39, vcc, s15, v63
	s_waitcnt vmcnt(13)
	v_lshrrev_b32_e32 v1, 16, v6
	v_mul_f16_sdwa v2, v55, v1 dst_sel:DWORD dst_unused:UNUSED_PAD src0_sel:WORD_1 src1_sel:DWORD
	v_mul_f16_sdwa v3, v55, v6 dst_sel:DWORD dst_unused:UNUSED_PAD src0_sel:WORD_1 src1_sel:DWORD
	v_fma_f16 v2, v55, v6, v2
	v_fma_f16 v1, v55, v1, -v3
	v_pack_b32_f16 v1, v2, v1
	s_movk_i32 s7, 0xfa
	s_waitcnt vmcnt(12)
	v_lshrrev_b32_e32 v2, 16, v8
	v_mul_f16_sdwa v3, v53, v2 dst_sel:DWORD dst_unused:UNUSED_PAD src0_sel:WORD_1 src1_sel:DWORD
	v_mul_f16_sdwa v5, v53, v8 dst_sel:DWORD dst_unused:UNUSED_PAD src0_sel:WORD_1 src1_sel:DWORD
	v_fma_f16 v3, v53, v8, v3
	v_fma_f16 v2, v53, v2, -v5
	v_pack_b32_f16 v2, v3, v2
	s_waitcnt vmcnt(11)
	v_lshrrev_b32_e32 v3, 16, v13
	s_waitcnt vmcnt(10)
	v_mul_f16_sdwa v5, v54, v3 dst_sel:DWORD dst_unused:UNUSED_PAD src0_sel:WORD_1 src1_sel:DWORD
	v_mul_f16_sdwa v6, v54, v13 dst_sel:DWORD dst_unused:UNUSED_PAD src0_sel:WORD_1 src1_sel:DWORD
	v_fma_f16 v5, v54, v13, v5
	v_fma_f16 v3, v54, v3, -v6
	v_pack_b32_f16 v3, v5, v3
	s_waitcnt vmcnt(9)
	v_lshrrev_b32_e32 v5, 16, v14
	s_waitcnt vmcnt(8)
	v_mul_f16_sdwa v6, v52, v5 dst_sel:DWORD dst_unused:UNUSED_PAD src0_sel:WORD_1 src1_sel:DWORD
	v_mul_f16_sdwa v8, v52, v14 dst_sel:DWORD dst_unused:UNUSED_PAD src0_sel:WORD_1 src1_sel:DWORD
	v_fma_f16 v6, v52, v14, v6
	v_fma_f16 v5, v52, v5, -v8
	v_pack_b32_f16 v5, v6, v5
	s_waitcnt vmcnt(7)
	v_lshrrev_b32_e32 v6, 16, v4
	v_mul_f16_sdwa v8, v51, v6 dst_sel:DWORD dst_unused:UNUSED_PAD src0_sel:WORD_1 src1_sel:DWORD
	v_fma_f16 v8, v51, v4, v8
	v_mul_f16_sdwa v4, v51, v4 dst_sel:DWORD dst_unused:UNUSED_PAD src0_sel:WORD_1 src1_sel:DWORD
	v_fma_f16 v4, v51, v6, -v4
	v_pack_b32_f16 v4, v8, v4
	ds_write_b32 v45, v4 offset:1000
	s_waitcnt vmcnt(6)
	v_lshrrev_b32_e32 v4, 16, v10
	v_mul_f16_sdwa v6, v50, v4 dst_sel:DWORD dst_unused:UNUSED_PAD src0_sel:WORD_1 src1_sel:DWORD
	v_mul_f16_sdwa v8, v50, v10 dst_sel:DWORD dst_unused:UNUSED_PAD src0_sel:WORD_1 src1_sel:DWORD
	v_fma_f16 v6, v50, v10, v6
	v_fma_f16 v4, v50, v4, -v8
	v_pack_b32_f16 v4, v6, v4
	ds_write2_b32 v59, v1, v4 offset0:116 offset1:241
	s_waitcnt vmcnt(5)
	v_lshrrev_b32_e32 v1, 16, v16
	s_waitcnt vmcnt(4)
	v_mul_f16_sdwa v4, v49, v1 dst_sel:DWORD dst_unused:UNUSED_PAD src0_sel:WORD_1 src1_sel:DWORD
	v_mul_f16_sdwa v6, v49, v16 dst_sel:DWORD dst_unused:UNUSED_PAD src0_sel:WORD_1 src1_sel:DWORD
	v_fma_f16 v4, v49, v16, v4
	v_fma_f16 v1, v49, v1, -v6
	v_pack_b32_f16 v1, v4, v1
	v_add_u32_e32 v4, 0xc00, v45
	ds_write2_b32 v4, v2, v1 offset0:107 offset1:232
	s_waitcnt vmcnt(3)
	v_lshrrev_b32_e32 v1, 16, v7
	s_waitcnt vmcnt(1)
	v_mul_f16_sdwa v2, v47, v1 dst_sel:DWORD dst_unused:UNUSED_PAD src0_sel:WORD_1 src1_sel:DWORD
	v_mul_f16_sdwa v4, v47, v7 dst_sel:DWORD dst_unused:UNUSED_PAD src0_sel:WORD_1 src1_sel:DWORD
	v_fma_f16 v2, v47, v7, v2
	v_fma_f16 v1, v47, v1, -v4
	v_pack_b32_f16 v1, v2, v1
	ds_write2_b32 v57, v3, v1 offset0:98 offset1:223
	s_waitcnt vmcnt(0)
	v_lshrrev_b32_e32 v1, 16, v0
	v_mul_f16_sdwa v2, v46, v1 dst_sel:DWORD dst_unused:UNUSED_PAD src0_sel:WORD_1 src1_sel:DWORD
	v_fma_f16 v2, v46, v0, v2
	v_mul_f16_sdwa v0, v46, v0 dst_sel:DWORD dst_unused:UNUSED_PAD src0_sel:WORD_1 src1_sel:DWORD
	v_fma_f16 v0, v46, v1, -v0
	v_pack_b32_f16 v0, v2, v0
	v_add_u32_e32 v1, 0x1800, v45
	ds_write2_b32 v1, v5, v0 offset0:89 offset1:214
	s_waitcnt lgkmcnt(0)
	s_barrier
	ds_read2_b32 v[0:1], v45 offset1:125
	ds_read2_b32 v[2:3], v59 offset0:116 offset1:241
	ds_read2_b32 v[4:5], v67 offset0:110 offset1:235
	;; [unrolled: 1-line block ×4, first 2 shown]
	v_mul_lo_u16_e32 v10, 5, v63
	v_lshl_add_u32 v69, v10, 2, v33
	s_waitcnt lgkmcnt(2)
	v_pk_add_f16 v13, v2, v5 neg_lo:[0,1] neg_hi:[0,1]
	s_waitcnt lgkmcnt(1)
	v_pk_add_f16 v10, v5, v6
	s_waitcnt lgkmcnt(0)
	v_pk_add_f16 v15, v2, v9 neg_lo:[0,1] neg_hi:[0,1]
	v_pk_fma_f16 v10, v10, 0.5, v1 op_sel_hi:[1,0,1] neg_lo:[1,0,0] neg_hi:[1,0,0]
	v_pk_mul_f16 v11, v15, s0 op_sel_hi:[1,0]
	v_pk_add_f16 v16, v5, v6 neg_lo:[0,1] neg_hi:[0,1]
	v_pk_add_f16 v17, v9, v6 neg_lo:[0,1] neg_hi:[0,1]
	v_pk_mul_f16 v12, v16, s1 op_sel_hi:[1,0]
	v_pk_add_f16 v17, v13, v17
	v_pk_add_f16 v13, v10, v11 op_sel:[0,1] op_sel_hi:[1,0]
	v_pk_add_f16 v10, v10, v11 op_sel:[0,1] op_sel_hi:[1,0] neg_lo:[0,1] neg_hi:[0,1]
	v_pk_add_f16 v18, v13, v12 op_sel:[0,1] op_sel_hi:[1,0]
	v_pk_add_f16 v19, v10, v12 op_sel:[0,1] op_sel_hi:[1,0] neg_lo:[0,1] neg_hi:[0,1]
	ds_read2_b32 v[10:11], v68 offset0:122 offset1:247
	ds_read2_b32 v[12:13], v66 offset0:104 offset1:229
	ds_read_b32 v20, v45 offset:7000
	s_waitcnt lgkmcnt(0)
	s_barrier
	v_pk_add_f16 v23, v11, v8 neg_lo:[0,1] neg_hi:[0,1]
	v_pk_add_f16 v22, v4, v13
	v_pk_fma_f16 v22, v22, 0.5, v0 op_sel_hi:[1,0,1] neg_lo:[1,0,0] neg_hi:[1,0,0]
	v_pk_mul_f16 v24, v23, s0 op_sel_hi:[1,0]
	v_pk_add_f16 v25, v4, v13 neg_lo:[0,1] neg_hi:[0,1]
	v_pk_add_f16 v26, v11, v4 neg_lo:[0,1] neg_hi:[0,1]
	;; [unrolled: 1-line block ×3, first 2 shown]
	v_pk_add_f16 v21, v0, v11
	v_pk_add_f16 v26, v26, v27
	v_pk_add_f16 v27, v22, v24 op_sel:[0,1] op_sel_hi:[1,0]
	v_pk_add_f16 v22, v22, v24 op_sel:[0,1] op_sel_hi:[1,0] neg_lo:[0,1] neg_hi:[0,1]
	v_pk_mul_f16 v24, v25, s1 op_sel_hi:[1,0]
	v_pk_add_f16 v21, v21, v4
	v_pk_add_f16 v27, v27, v24 op_sel:[0,1] op_sel_hi:[1,0]
	v_pk_add_f16 v22, v22, v24 op_sel:[0,1] op_sel_hi:[1,0] neg_lo:[0,1] neg_hi:[0,1]
	v_pk_add_f16 v21, v21, v13
	v_bfi_b32 v24, s14, v27, v22
	v_pk_add_f16 v21, v21, v8
	v_pk_fma_f16 v24, v26, s6, v24 op_sel_hi:[1,0,1]
	ds_write2_b32 v69, v21, v24 offset1:1
	v_pk_add_f16 v21, v2, v9
	v_pk_add_f16 v14, v1, v2
	v_pk_fma_f16 v1, v21, 0.5, v1 op_sel_hi:[1,0,1] neg_lo:[1,0,0] neg_hi:[1,0,0]
	v_pk_add_f16 v21, v11, v8
	v_pk_add_f16 v4, v4, v11 neg_lo:[0,1] neg_hi:[0,1]
	v_pk_add_f16 v8, v13, v8 neg_lo:[0,1] neg_hi:[0,1]
	v_pk_fma_f16 v0, v21, 0.5, v0 op_sel_hi:[1,0,1] neg_lo:[1,0,0] neg_hi:[1,0,0]
	v_pk_add_f16 v4, v4, v8
	v_pk_mul_f16 v8, v25, s0 op_sel_hi:[1,0]
	v_pk_mul_f16 v11, v23, s1 op_sel_hi:[1,0]
	v_pk_add_f16 v13, v0, v8 op_sel:[0,1] op_sel_hi:[1,0] neg_lo:[0,1] neg_hi:[0,1]
	v_pk_add_f16 v0, v0, v8 op_sel:[0,1] op_sel_hi:[1,0]
	v_pk_add_f16 v2, v5, v2 neg_lo:[0,1] neg_hi:[0,1]
	v_pk_add_f16 v21, v6, v9 neg_lo:[0,1] neg_hi:[0,1]
	v_pk_mul_f16 v16, v16, s0 op_sel_hi:[1,0]
	v_pk_add_f16 v8, v13, v11 op_sel:[0,1] op_sel_hi:[1,0]
	v_pk_add_f16 v0, v0, v11 op_sel:[0,1] op_sel_hi:[1,0] neg_lo:[0,1] neg_hi:[0,1]
	v_pk_add_f16 v2, v2, v21
	v_pk_add_f16 v21, v1, v16 op_sel:[0,1] op_sel_hi:[1,0] neg_lo:[0,1] neg_hi:[0,1]
	v_pk_add_f16 v1, v1, v16 op_sel:[0,1] op_sel_hi:[1,0]
	v_pk_mul_f16 v15, v15, s1 op_sel_hi:[1,0]
	v_bfi_b32 v11, s14, v8, v0
	v_bfi_b32 v0, s14, v0, v8
	v_pk_add_f16 v16, v21, v15 op_sel:[0,1] op_sel_hi:[1,0]
	v_pk_add_f16 v1, v1, v15 op_sel:[0,1] op_sel_hi:[1,0] neg_lo:[0,1] neg_hi:[0,1]
	v_pk_fma_f16 v11, v4, s6, v11 op_sel_hi:[1,0,1]
	v_pk_fma_f16 v0, v4, s6, v0 op_sel_hi:[1,0,1]
	v_bfi_b32 v15, s14, v16, v1
	v_bfi_b32 v1, s14, v1, v16
	v_pk_add_f16 v5, v14, v5
	ds_write2_b32 v69, v11, v0 offset0:2 offset1:3
	v_bfi_b32 v0, s14, v22, v27
	v_pk_fma_f16 v15, v2, s6, v15 op_sel_hi:[1,0,1]
	v_pk_fma_f16 v1, v2, s6, v1 op_sel_hi:[1,0,1]
	v_bfi_b32 v2, s14, v18, v19
	v_bfi_b32 v16, s14, v19, v18
	v_mul_u32_u24_e32 v18, 5, v39
	v_pk_add_f16 v5, v5, v6
	v_pk_fma_f16 v0, v26, s6, v0 op_sel_hi:[1,0,1]
	v_add_co_u32_e32 v34, vcc, s7, v63
	v_lshl_add_u32 v73, v18, 2, v33
	v_pk_add_f16 v5, v5, v9
	v_pk_fma_f16 v2, v17, s6, v2 op_sel_hi:[1,0,1]
	v_pk_fma_f16 v6, v17, s6, v16 op_sel_hi:[1,0,1]
	ds_write_b32 v69, v0 offset:16
	ds_write2_b32 v73, v5, v2 offset1:1
	ds_write2_b32 v73, v15, v1 offset0:2 offset1:3
	ds_write_b32 v73, v6 offset:16
	v_pk_add_f16 v0, v12, v7
	v_pk_add_f16 v1, v3, v20 neg_lo:[0,1] neg_hi:[0,1]
	v_mul_u32_u24_e32 v9, 5, v34
	v_pk_fma_f16 v0, v0, 0.5, v10 op_sel_hi:[1,0,1] neg_lo:[1,0,0] neg_hi:[1,0,0]
	v_pk_mul_f16 v2, v1, s0 op_sel_hi:[1,0]
	v_pk_add_f16 v4, v12, v7 neg_lo:[0,1] neg_hi:[0,1]
	v_pk_add_f16 v6, v3, v12 neg_lo:[0,1] neg_hi:[0,1]
	;; [unrolled: 1-line block ×3, first 2 shown]
	v_lshl_add_u32 v72, v9, 2, v33
	v_pk_add_f16 v9, v10, v3
	v_pk_mul_f16 v5, v4, s1 op_sel_hi:[1,0]
	v_pk_add_f16 v6, v6, v8
	v_pk_add_f16 v8, v0, v2 op_sel:[0,1] op_sel_hi:[1,0]
	v_pk_add_f16 v0, v0, v2 op_sel:[0,1] op_sel_hi:[1,0] neg_lo:[0,1] neg_hi:[0,1]
	v_pk_add_f16 v9, v9, v12
	v_pk_add_f16 v2, v8, v5 op_sel:[0,1] op_sel_hi:[1,0]
	v_pk_add_f16 v0, v0, v5 op_sel:[0,1] op_sel_hi:[1,0] neg_lo:[0,1] neg_hi:[0,1]
	v_pk_add_f16 v9, v9, v7
	v_bfi_b32 v5, s14, v2, v0
	v_pk_add_f16 v9, v9, v20
	v_pk_fma_f16 v5, v6, s6, v5 op_sel_hi:[1,0,1]
	v_bfi_b32 v0, s14, v0, v2
	ds_write2_b32 v72, v9, v5 offset1:1
	v_pk_add_f16 v5, v3, v20
	v_pk_fma_f16 v0, v6, s6, v0 op_sel_hi:[1,0,1]
	s_movk_i32 s7, 0xcd
	v_pk_fma_f16 v5, v5, 0.5, v10 op_sel_hi:[1,0,1] neg_lo:[1,0,0] neg_hi:[1,0,0]
	v_pk_add_f16 v3, v12, v3 neg_lo:[0,1] neg_hi:[0,1]
	v_pk_add_f16 v7, v7, v20 neg_lo:[0,1] neg_hi:[0,1]
	v_pk_mul_f16 v4, v4, s0 op_sel_hi:[1,0]
	ds_write_b32 v72, v0 offset:16
	v_mul_lo_u16_sdwa v0, v63, s7 dst_sel:DWORD dst_unused:UNUSED_PAD src0_sel:BYTE_0 src1_sel:DWORD
	v_pk_add_f16 v3, v3, v7
	v_pk_mul_f16 v1, v1, s1 op_sel_hi:[1,0]
	v_pk_add_f16 v7, v5, v4 op_sel:[0,1] op_sel_hi:[1,0] neg_lo:[0,1] neg_hi:[0,1]
	v_pk_add_f16 v4, v5, v4 op_sel:[0,1] op_sel_hi:[1,0]
	v_lshrrev_b16_e32 v16, 10, v0
	v_pk_add_f16 v5, v7, v1 op_sel:[0,1] op_sel_hi:[1,0]
	v_pk_add_f16 v1, v4, v1 op_sel:[0,1] op_sel_hi:[1,0] neg_lo:[0,1] neg_hi:[0,1]
	v_mul_lo_u16_e32 v0, 5, v16
	v_bfi_b32 v4, s14, v5, v1
	v_bfi_b32 v1, s14, v1, v5
	v_sub_u16_e32 v17, v63, v0
	v_mov_b32_e32 v12, 4
	v_pk_fma_f16 v4, v3, s6, v4 op_sel_hi:[1,0,1]
	v_pk_fma_f16 v1, v3, s6, v1 op_sel_hi:[1,0,1]
	v_lshlrev_b32_sdwa v0, v12, v17 dst_sel:DWORD dst_unused:UNUSED_PAD src0_sel:DWORD src1_sel:BYTE_0
	ds_write2_b32 v72, v4, v1 offset0:2 offset1:3
	s_waitcnt lgkmcnt(0)
	s_barrier
	global_load_dwordx4 v[0:3], v0, s[2:3]
	ds_read2_b32 v[8:9], v68 offset0:122 offset1:247
	ds_read2_b32 v[10:11], v67 offset0:110 offset1:235
	;; [unrolled: 1-line block ×3, first 2 shown]
	v_mul_lo_u16_sdwa v4, v39, s7 dst_sel:DWORD dst_unused:UNUSED_PAD src0_sel:BYTE_0 src1_sel:DWORD
	v_lshrrev_b16_e32 v20, 10, v4
	s_waitcnt lgkmcnt(2)
	v_lshrrev_b32_e32 v15, 16, v9
	s_waitcnt lgkmcnt(1)
	v_lshrrev_b32_e32 v18, 16, v10
	v_mul_lo_u16_e32 v4, 5, v20
	v_sub_u16_e32 v21, v39, v4
	s_waitcnt lgkmcnt(0)
	v_lshrrev_b32_e32 v19, 16, v14
	v_lshlrev_b32_sdwa v4, v12, v21 dst_sel:DWORD dst_unused:UNUSED_PAD src0_sel:DWORD src1_sel:BYTE_0
	global_load_dwordx4 v[4:7], v4, s[2:3]
	v_mul_u32_u24_e32 v16, 25, v16
	v_add_u32_sdwa v41, v16, v17 dst_sel:DWORD dst_unused:UNUSED_PAD src0_sel:DWORD src1_sel:BYTE_0
	s_mov_b32 s12, 0xbb9c
	s_mov_b32 s7, 0xb8b4
	;; [unrolled: 1-line block ×3, first 2 shown]
	v_lshl_add_u32 v74, v41, 2, v33
	s_waitcnt vmcnt(1)
	v_mul_f16_sdwa v22, v15, v0 dst_sel:DWORD dst_unused:UNUSED_PAD src0_sel:DWORD src1_sel:WORD_1
	v_fma_f16 v22, v9, v0, -v22
	v_mul_f16_sdwa v9, v9, v0 dst_sel:DWORD dst_unused:UNUSED_PAD src0_sel:DWORD src1_sel:WORD_1
	v_fma_f16 v23, v15, v0, v9
	v_mul_f16_sdwa v9, v10, v1 dst_sel:DWORD dst_unused:UNUSED_PAD src0_sel:DWORD src1_sel:WORD_1
	v_fma_f16 v28, v18, v1, v9
	v_mul_f16_sdwa v9, v18, v1 dst_sel:DWORD dst_unused:UNUSED_PAD src0_sel:DWORD src1_sel:WORD_1
	v_fma_f16 v29, v10, v1, -v9
	ds_read2_b32 v[9:10], v64 offset0:92 offset1:217
	v_mul_f16_sdwa v15, v14, v2 dst_sel:DWORD dst_unused:UNUSED_PAD src0_sel:DWORD src1_sel:WORD_1
	v_fma_f16 v30, v19, v2, v15
	v_mul_f16_sdwa v15, v19, v2 dst_sel:DWORD dst_unused:UNUSED_PAD src0_sel:DWORD src1_sel:WORD_1
	v_fma_f16 v31, v14, v2, -v15
	s_waitcnt lgkmcnt(0)
	v_lshrrev_b32_e32 v14, 16, v9
	v_mul_f16_sdwa v15, v9, v3 dst_sel:DWORD dst_unused:UNUSED_PAD src0_sel:DWORD src1_sel:WORD_1
	v_fma_f16 v37, v14, v3, v15
	v_mul_f16_sdwa v14, v14, v3 dst_sel:DWORD dst_unused:UNUSED_PAD src0_sel:DWORD src1_sel:WORD_1
	v_fma_f16 v9, v9, v3, -v14
	v_sub_f16_e32 v14, v22, v29
	v_sub_f16_e32 v15, v9, v31
	v_add_f16_e32 v38, v14, v15
	ds_read2_b32 v[14:15], v45 offset1:125
	v_sub_f16_e32 v75, v23, v37
	v_sub_f16_e32 v78, v22, v9
	;; [unrolled: 1-line block ×4, first 2 shown]
	s_waitcnt lgkmcnt(0)
	v_lshrrev_b32_e32 v42, 16, v14
	v_add_f16_e32 v16, v14, v22
	v_add_f16_e32 v17, v42, v23
	;; [unrolled: 1-line block ×8, first 2 shown]
	v_pack_b32_f16 v43, v16, v17
	v_add_f16_e32 v16, v29, v31
	v_add_f16_e32 v17, v28, v30
	v_fma_f16 v44, v16, -0.5, v14
	v_fma_f16 v77, v17, -0.5, v42
	v_fma_f16 v16, v75, s0, v44
	v_sub_f16_e32 v76, v28, v30
	v_fma_f16 v17, v78, s12, v77
	v_sub_f16_e32 v79, v29, v31
	v_add_f16_e32 v40, v18, v19
	v_fma_f16 v16, v76, s1, v16
	v_fma_f16 v17, v79, s7, v17
	;; [unrolled: 1-line block ×4, first 2 shown]
	v_pack_b32_f16 v80, v16, v17
	v_mul_u32_u24_sdwa v16, v34, s13 dst_sel:DWORD dst_unused:UNUSED_PAD src0_sel:WORD_0 src1_sel:DWORD
	v_lshrrev_b32_e32 v81, 18, v16
	v_mul_lo_u16_e32 v16, 5, v81
	v_sub_u16_e32 v82, v34, v16
	v_lshlrev_b16_e32 v16, 2, v82
	v_lshlrev_b32_e32 v24, 2, v16
	ds_read_b32 v83, v45 offset:7000
	ds_read2_b32 v[16:17], v59 offset0:116 offset1:241
	ds_read2_b32 v[18:19], v57 offset0:98 offset1:223
	global_load_dwordx4 v[24:27], v24, s[2:3]
	v_sub_f16_e32 v29, v29, v22
	v_add_f16_e32 v22, v22, v9
	v_fma_f16 v14, v22, -0.5, v14
	v_sub_f16_e32 v9, v31, v9
	v_fma_f16 v22, v76, s12, v14
	v_fma_f16 v14, v76, s0, v14
	v_add_f16_e32 v9, v29, v9
	v_fma_f16 v22, v75, s1, v22
	v_fma_f16 v14, v75, s7, v14
	;; [unrolled: 1-line block ×4, first 2 shown]
	v_add_f16_e32 v14, v23, v37
	v_fma_f16 v14, v14, -0.5, v42
	v_sub_f16_e32 v23, v28, v23
	v_sub_f16_e32 v28, v30, v37
	v_add_f16_e32 v23, v23, v28
	v_fma_f16 v28, v79, s0, v14
	v_fma_f16 v14, v79, s12, v14
	;; [unrolled: 1-line block ×6, first 2 shown]
	v_pack_b32_f16 v22, v22, v28
	v_pack_b32_f16 v9, v9, v14
	s_waitcnt vmcnt(0) lgkmcnt(0)
	s_barrier
	ds_write2_b32 v74, v22, v9 offset0:10 offset1:15
	v_lshrrev_b32_e32 v9, 16, v11
	v_mul_f16_sdwa v14, v9, v5 dst_sel:DWORD dst_unused:UNUSED_PAD src0_sel:DWORD src1_sel:WORD_1
	v_fma_f16 v14, v11, v5, -v14
	v_mul_f16_sdwa v11, v11, v5 dst_sel:DWORD dst_unused:UNUSED_PAD src0_sel:DWORD src1_sel:WORD_1
	v_fma_f16 v9, v9, v5, v11
	v_lshrrev_b32_e32 v11, 16, v10
	v_mul_f16_sdwa v22, v11, v7 dst_sel:DWORD dst_unused:UNUSED_PAD src0_sel:DWORD src1_sel:WORD_1
	v_lshrrev_b32_e32 v28, 16, v16
	v_mul_f16_sdwa v29, v16, v4 dst_sel:DWORD dst_unused:UNUSED_PAD src0_sel:DWORD src1_sel:WORD_1
	v_fma_f16 v22, v10, v7, -v22
	v_mul_f16_sdwa v10, v10, v7 dst_sel:DWORD dst_unused:UNUSED_PAD src0_sel:DWORD src1_sel:WORD_1
	v_fma_f16 v29, v28, v4, v29
	v_mul_f16_sdwa v28, v28, v4 dst_sel:DWORD dst_unused:UNUSED_PAD src0_sel:DWORD src1_sel:WORD_1
	v_fma_f16 v10, v11, v7, v10
	v_fma_f16 v11, v75, s12, v44
	;; [unrolled: 1-line block ×3, first 2 shown]
	v_fma_f16 v16, v16, v4, -v28
	v_lshrrev_b32_e32 v28, 16, v18
	v_mul_f16_sdwa v30, v18, v6 dst_sel:DWORD dst_unused:UNUSED_PAD src0_sel:DWORD src1_sel:WORD_1
	v_fma_f16 v11, v76, s7, v11
	v_fma_f16 v23, v79, s1, v23
	;; [unrolled: 1-line block ×3, first 2 shown]
	v_mul_f16_sdwa v28, v28, v6 dst_sel:DWORD dst_unused:UNUSED_PAD src0_sel:DWORD src1_sel:WORD_1
	v_fma_f16 v11, v38, s6, v11
	v_fma_f16 v23, v40, s6, v23
	v_fma_f16 v18, v18, v6, -v28
	v_add_f16_e32 v28, v14, v18
	v_add_f16_e32 v31, v16, v22
	v_lshrrev_b32_e32 v37, 16, v15
	v_pack_b32_f16 v11, v11, v23
	v_fma_f16 v28, v28, -0.5, v15
	v_fma_f16 v31, v31, -0.5, v15
	v_add_f16_e32 v15, v15, v16
	ds_write_b32 v74, v11 offset:80
	v_mul_u32_u24_e32 v11, 25, v20
	v_add_f16_e32 v20, v37, v29
	v_sub_f16_e32 v38, v16, v14
	v_sub_f16_e32 v40, v22, v18
	v_add_f16_e32 v15, v15, v14
	v_add_f16_e32 v20, v20, v9
	;; [unrolled: 1-line block ×3, first 2 shown]
	v_sub_f16_e32 v40, v29, v9
	v_sub_f16_e32 v41, v10, v30
	v_add_f16_e32 v15, v15, v18
	v_add_f16_e32 v20, v20, v30
	;; [unrolled: 1-line block ×6, first 2 shown]
	v_pack_b32_f16 v15, v15, v20
	v_sub_f16_e32 v20, v29, v10
	v_fma_f16 v41, v41, -0.5, v37
	v_sub_f16_e32 v42, v16, v22
	ds_write2_b32 v74, v43, v80 offset1:5
	v_add_u32_sdwa v11, v11, v21 dst_sel:DWORD dst_unused:UNUSED_PAD src0_sel:DWORD src1_sel:BYTE_0
	v_fma_f16 v21, v20, s0, v28
	v_sub_f16_e32 v23, v9, v30
	v_fma_f16 v43, v42, s12, v41
	v_sub_f16_e32 v44, v14, v18
	v_fma_f16 v21, v23, s1, v21
	v_fma_f16 v43, v44, s7, v43
	;; [unrolled: 1-line block ×4, first 2 shown]
	v_pack_b32_f16 v21, v21, v43
	v_lshl_add_u32 v75, v11, 2, v33
	v_sub_f16_e32 v11, v14, v16
	v_sub_f16_e32 v14, v18, v22
	ds_write2_b32 v75, v15, v21 offset1:5
	v_add_f16_e32 v11, v11, v14
	v_fma_f16 v14, v23, s12, v31
	v_fma_f16 v15, v23, s0, v31
	;; [unrolled: 1-line block ×6, first 2 shown]
	v_add_f16_e32 v15, v29, v10
	v_fma_f16 v15, v15, -0.5, v37
	v_sub_f16_e32 v9, v9, v29
	v_sub_f16_e32 v10, v30, v10
	v_add_f16_e32 v9, v9, v10
	v_fma_f16 v10, v44, s0, v15
	v_fma_f16 v15, v44, s12, v15
	;; [unrolled: 1-line block ×6, first 2 shown]
	v_pack_b32_f16 v10, v14, v10
	v_pack_b32_f16 v9, v11, v9
	ds_write2_b32 v75, v10, v9 offset0:10 offset1:15
	v_lshrrev_b32_e32 v9, 16, v17
	v_mul_f16_sdwa v11, v17, v24 dst_sel:DWORD dst_unused:UNUSED_PAD src0_sel:DWORD src1_sel:WORD_1
	v_mul_f16_sdwa v10, v9, v24 dst_sel:DWORD dst_unused:UNUSED_PAD src0_sel:DWORD src1_sel:WORD_1
	v_fma_f16 v9, v9, v24, v11
	v_lshrrev_b32_e32 v11, 16, v13
	v_mul_f16_sdwa v14, v11, v25 dst_sel:DWORD dst_unused:UNUSED_PAD src0_sel:DWORD src1_sel:WORD_1
	v_fma_f16 v14, v13, v25, -v14
	v_mul_f16_sdwa v13, v13, v25 dst_sel:DWORD dst_unused:UNUSED_PAD src0_sel:DWORD src1_sel:WORD_1
	v_fma_f16 v11, v11, v25, v13
	v_lshrrev_b32_e32 v13, 16, v19
	v_mul_f16_sdwa v16, v19, v26 dst_sel:DWORD dst_unused:UNUSED_PAD src0_sel:DWORD src1_sel:WORD_1
	v_mul_f16_sdwa v15, v13, v26 dst_sel:DWORD dst_unused:UNUSED_PAD src0_sel:DWORD src1_sel:WORD_1
	v_fma_f16 v13, v13, v26, v16
	v_lshrrev_b32_e32 v16, 16, v83
	v_fma_f16 v10, v17, v24, -v10
	v_mul_f16_sdwa v17, v16, v27 dst_sel:DWORD dst_unused:UNUSED_PAD src0_sel:DWORD src1_sel:WORD_1
	v_mul_f16_sdwa v18, v83, v27 dst_sel:DWORD dst_unused:UNUSED_PAD src0_sel:DWORD src1_sel:WORD_1
	v_fma_f16 v15, v19, v26, -v15
	v_fma_f16 v17, v83, v27, -v17
	v_fma_f16 v16, v16, v27, v18
	v_fma_f16 v18, v20, s12, v28
	;; [unrolled: 1-line block ×3, first 2 shown]
	v_add_f16_e32 v20, v14, v15
	v_add_f16_e32 v21, v10, v17
	v_sub_f16_e32 v23, v10, v14
	v_sub_f16_e32 v28, v17, v15
	v_fma_f16 v20, v20, -0.5, v8
	v_fma_f16 v21, v21, -0.5, v8
	v_lshrrev_b32_e32 v22, 16, v8
	v_add_f16_e32 v8, v8, v10
	v_add_f16_e32 v23, v23, v28
	v_sub_f16_e32 v28, v9, v16
	v_fma_f16 v29, v28, s0, v20
	v_sub_f16_e32 v30, v11, v13
	v_fma_f16 v20, v28, s12, v20
	v_add_f16_e32 v8, v8, v14
	v_fma_f16 v29, v30, s1, v29
	v_fma_f16 v20, v30, s7, v20
	v_add_f16_e32 v8, v8, v15
	v_fma_f16 v29, v23, s6, v29
	v_fma_f16 v20, v23, s6, v20
	v_sub_f16_e32 v23, v14, v10
	v_sub_f16_e32 v31, v15, v17
	v_add_f16_e32 v8, v8, v17
	v_sub_f16_e32 v10, v10, v17
	v_sub_f16_e32 v14, v14, v15
	;; [unrolled: 1-line block ×4, first 2 shown]
	v_add_f16_e32 v23, v23, v31
	v_fma_f16 v31, v30, s12, v21
	v_fma_f16 v21, v30, s0, v21
	v_add_f16_e32 v15, v15, v17
	v_add_f16_e32 v17, v11, v13
	v_fma_f16 v30, v28, s1, v31
	v_fma_f16 v21, v28, s7, v21
	v_fma_f16 v17, v17, -0.5, v22
	v_fma_f16 v28, v23, s6, v30
	v_fma_f16 v21, v23, s6, v21
	;; [unrolled: 1-line block ×8, first 2 shown]
	v_add_f16_e32 v17, v9, v16
	v_fma_f16 v17, v17, -0.5, v22
	v_add_f16_e32 v22, v22, v9
	v_add_f16_e32 v22, v22, v11
	v_fma_f16 v19, v42, s0, v41
	v_sub_f16_e32 v9, v11, v9
	v_add_f16_e32 v11, v22, v13
	v_sub_f16_e32 v13, v13, v16
	v_fma_f16 v19, v44, s1, v19
	v_add_f16_e32 v9, v9, v13
	v_fma_f16 v13, v14, s0, v17
	v_fma_f16 v14, v14, s12, v17
	v_fma_f16 v18, v38, s6, v18
	v_fma_f16 v19, v40, s6, v19
	v_fma_f16 v13, v10, s7, v13
	v_fma_f16 v10, v10, s1, v14
	v_fma_f16 v13, v9, s6, v13
	v_fma_f16 v9, v9, s6, v10
	v_pack_b32_f16 v10, v18, v19
	v_add_f16_e32 v11, v11, v16
	ds_write_b32 v75, v10 offset:80
	v_mad_legacy_u16 v10, v81, 25, v82
	v_pack_b32_f16 v8, v8, v11
	v_pack_b32_f16 v11, v29, v23
	v_lshl_add_u32 v76, v10, 2, v33
	ds_write2_b32 v76, v8, v11 offset1:5
	v_pack_b32_f16 v8, v28, v13
	v_pack_b32_f16 v9, v21, v9
	ds_write2_b32 v76, v8, v9 offset0:10 offset1:15
	v_pack_b32_f16 v8, v20, v15
	v_mov_b32_e32 v13, 41
	ds_write_b32 v76, v8 offset:80
	v_mul_lo_u16_sdwa v8, v63, v13 dst_sel:DWORD dst_unused:UNUSED_PAD src0_sel:BYTE_0 src1_sel:DWORD
	v_lshrrev_b16_e32 v23, 10, v8
	v_mul_lo_u16_e32 v8, 25, v23
	v_sub_u16_e32 v28, v63, v8
	v_lshlrev_b32_sdwa v8, v12, v28 dst_sel:DWORD dst_unused:UNUSED_PAD src0_sel:DWORD src1_sel:BYTE_0
	s_waitcnt lgkmcnt(0)
	s_barrier
	global_load_dwordx4 v[8:11], v8, s[2:3] offset:80
	v_mul_lo_u16_sdwa v13, v39, v13 dst_sel:DWORD dst_unused:UNUSED_PAD src0_sel:BYTE_0 src1_sel:DWORD
	s_movk_i32 s13, 0x47af
	v_lshrrev_b16_e32 v42, 10, v13
	v_mul_u32_u24_sdwa v13, v34, s13 dst_sel:DWORD dst_unused:UNUSED_PAD src0_sel:WORD_0 src1_sel:DWORD
	ds_read2_b32 v[16:17], v68 offset0:122 offset1:247
	v_sub_u16_sdwa v14, v34, v13 dst_sel:DWORD dst_unused:UNUSED_PAD src0_sel:DWORD src1_sel:WORD_1
	v_lshrrev_b16_e32 v14, 1, v14
	v_add_u16_sdwa v29, v14, v13 dst_sel:DWORD dst_unused:UNUSED_PAD src0_sel:DWORD src1_sel:WORD_1
	v_mul_lo_u16_e32 v13, 25, v42
	ds_read2_b32 v[18:19], v67 offset0:110 offset1:235
	v_sub_u16_e32 v43, v39, v13
	v_lshlrev_b32_sdwa v12, v12, v43 dst_sel:DWORD dst_unused:UNUSED_PAD src0_sel:DWORD src1_sel:BYTE_0
	global_load_dwordx4 v[12:15], v12, s[2:3] offset:80
	s_waitcnt lgkmcnt(1)
	v_lshrrev_b32_e32 v20, 16, v17
	v_mul_u32_u24_e32 v23, 0x7d, v23
	v_add_u32_sdwa v23, v23, v28 dst_sel:DWORD dst_unused:UNUSED_PAD src0_sel:DWORD src1_sel:BYTE_0
	v_lshrrev_b16_e32 v95, 4, v29
	v_lshl_add_u32 v77, v23, 2, v33
	s_movk_i32 s13, 0x625
	v_lshlrev_b32_e32 v39, 3, v39
	s_waitcnt vmcnt(1)
	v_mul_f16_sdwa v21, v17, v8 dst_sel:DWORD dst_unused:UNUSED_PAD src0_sel:DWORD src1_sel:WORD_1
	v_fma_f16 v44, v20, v8, v21
	v_mul_f16_sdwa v20, v20, v8 dst_sel:DWORD dst_unused:UNUSED_PAD src0_sel:DWORD src1_sel:WORD_1
	v_fma_f16 v78, v17, v8, -v20
	s_waitcnt lgkmcnt(0)
	v_lshrrev_b32_e32 v17, 16, v18
	ds_read2_b32 v[20:21], v66 offset0:104 offset1:229
	v_mul_f16_sdwa v22, v18, v9 dst_sel:DWORD dst_unused:UNUSED_PAD src0_sel:DWORD src1_sel:WORD_1
	v_fma_f16 v79, v17, v9, v22
	v_mul_f16_sdwa v17, v17, v9 dst_sel:DWORD dst_unused:UNUSED_PAD src0_sel:DWORD src1_sel:WORD_1
	v_fma_f16 v80, v18, v9, -v17
	ds_read2_b32 v[17:18], v64 offset0:92 offset1:217
	s_waitcnt lgkmcnt(1)
	v_lshrrev_b32_e32 v22, 16, v21
	v_mul_f16_sdwa v30, v21, v10 dst_sel:DWORD dst_unused:UNUSED_PAD src0_sel:DWORD src1_sel:WORD_1
	v_fma_f16 v81, v22, v10, v30
	v_mul_f16_sdwa v22, v22, v10 dst_sel:DWORD dst_unused:UNUSED_PAD src0_sel:DWORD src1_sel:WORD_1
	v_fma_f16 v82, v21, v10, -v22
	s_waitcnt lgkmcnt(0)
	v_lshrrev_b32_e32 v21, 16, v17
	v_mul_f16_sdwa v22, v17, v11 dst_sel:DWORD dst_unused:UNUSED_PAD src0_sel:DWORD src1_sel:WORD_1
	v_fma_f16 v83, v21, v11, v22
	v_mul_f16_sdwa v21, v21, v11 dst_sel:DWORD dst_unused:UNUSED_PAD src0_sel:DWORD src1_sel:WORD_1
	v_fma_f16 v17, v17, v11, -v21
	v_sub_f16_e32 v21, v78, v80
	v_sub_f16_e32 v22, v17, v82
	v_add_f16_e32 v84, v21, v22
	ds_read2_b32 v[21:22], v45 offset1:125
	v_sub_f16_e32 v30, v44, v79
	v_sub_f16_e32 v31, v83, v81
	v_add_f16_e32 v85, v30, v31
	v_sub_f16_e32 v89, v44, v83
	s_waitcnt lgkmcnt(0)
	v_lshrrev_b32_e32 v86, 16, v21
	v_add_f16_e32 v28, v21, v78
	v_add_f16_e32 v30, v86, v44
	;; [unrolled: 1-line block ×8, first 2 shown]
	v_pack_b32_f16 v87, v28, v30
	v_add_f16_e32 v28, v80, v82
	v_add_f16_e32 v30, v79, v81
	v_fma_f16 v88, v28, -0.5, v21
	v_fma_f16 v91, v30, -0.5, v86
	v_sub_f16_e32 v92, v78, v17
	v_fma_f16 v28, v89, s0, v88
	v_sub_f16_e32 v90, v79, v81
	v_fma_f16 v30, v92, s12, v91
	;; [unrolled: 2-line block ×3, first 2 shown]
	v_fma_f16 v30, v93, s7, v30
	v_fma_f16 v28, v84, s6, v28
	;; [unrolled: 1-line block ×3, first 2 shown]
	v_pack_b32_f16 v94, v28, v30
	v_mul_lo_u16_e32 v28, 25, v95
	v_sub_u16_e32 v96, v34, v28
	v_lshlrev_b16_e32 v28, 4, v96
	v_add_co_u32_e32 v28, vcc, s2, v28
	v_addc_co_u32_e32 v29, vcc, 0, v97, vcc
	ds_read_b32 v98, v45 offset:7000
	ds_read2_b32 v[37:38], v59 offset0:116 offset1:241
	ds_read2_b32 v[40:41], v57 offset0:98 offset1:223
	global_load_dwordx4 v[28:31], v[28:29], off offset:80
	v_sub_f16_e32 v23, v80, v78
	v_add_f16_e32 v78, v78, v17
	v_sub_f16_e32 v17, v82, v17
	v_fma_f16 v21, v78, -0.5, v21
	v_add_f16_e32 v17, v23, v17
	v_fma_f16 v23, v90, s12, v21
	v_fma_f16 v21, v90, s0, v21
	;; [unrolled: 1-line block ×6, first 2 shown]
	v_add_f16_e32 v21, v44, v83
	v_fma_f16 v21, v21, -0.5, v86
	v_sub_f16_e32 v44, v79, v44
	v_sub_f16_e32 v78, v81, v83
	v_add_f16_e32 v44, v44, v78
	v_fma_f16 v78, v93, s0, v21
	v_fma_f16 v21, v93, s12, v21
	;; [unrolled: 1-line block ×6, first 2 shown]
	v_pack_b32_f16 v23, v23, v78
	v_pack_b32_f16 v17, v17, v21
	s_waitcnt vmcnt(0) lgkmcnt(0)
	s_barrier
	ds_write2_b32 v77, v23, v17 offset0:50 offset1:75
	v_lshrrev_b32_e32 v17, 16, v19
	v_mul_f16_sdwa v21, v17, v13 dst_sel:DWORD dst_unused:UNUSED_PAD src0_sel:DWORD src1_sel:WORD_1
	v_fma_f16 v21, v19, v13, -v21
	v_mul_f16_sdwa v19, v19, v13 dst_sel:DWORD dst_unused:UNUSED_PAD src0_sel:DWORD src1_sel:WORD_1
	v_fma_f16 v17, v17, v13, v19
	v_lshrrev_b32_e32 v19, 16, v18
	v_lshrrev_b32_e32 v78, 16, v37
	v_mul_f16_sdwa v79, v37, v12 dst_sel:DWORD dst_unused:UNUSED_PAD src0_sel:DWORD src1_sel:WORD_1
	v_mul_f16_sdwa v23, v19, v15 dst_sel:DWORD dst_unused:UNUSED_PAD src0_sel:DWORD src1_sel:WORD_1
	v_fma_f16 v79, v78, v12, v79
	v_mul_f16_sdwa v78, v78, v12 dst_sel:DWORD dst_unused:UNUSED_PAD src0_sel:DWORD src1_sel:WORD_1
	v_fma_f16 v23, v18, v15, -v23
	v_mul_f16_sdwa v18, v18, v15 dst_sel:DWORD dst_unused:UNUSED_PAD src0_sel:DWORD src1_sel:WORD_1
	v_fma_f16 v37, v37, v12, -v78
	v_lshrrev_b32_e32 v78, 16, v40
	v_mul_f16_sdwa v80, v40, v14 dst_sel:DWORD dst_unused:UNUSED_PAD src0_sel:DWORD src1_sel:WORD_1
	v_fma_f16 v18, v19, v15, v18
	v_fma_f16 v19, v89, s12, v88
	;; [unrolled: 1-line block ×4, first 2 shown]
	v_mul_f16_sdwa v78, v78, v14 dst_sel:DWORD dst_unused:UNUSED_PAD src0_sel:DWORD src1_sel:WORD_1
	v_fma_f16 v19, v90, s7, v19
	v_fma_f16 v44, v93, s1, v44
	v_fma_f16 v40, v40, v14, -v78
	v_fma_f16 v19, v84, s6, v19
	v_fma_f16 v44, v85, s6, v44
	v_add_f16_e32 v78, v21, v40
	v_fma_f16 v81, v78, -0.5, v22
	v_add_f16_e32 v78, v37, v23
	v_lshrrev_b32_e32 v83, 16, v22
	v_pack_b32_f16 v19, v19, v44
	v_fma_f16 v82, v78, -0.5, v22
	v_add_f16_e32 v22, v22, v37
	ds_write_b32 v77, v19 offset:400
	v_mul_u32_u24_e32 v19, 0x7d, v42
	v_add_f16_e32 v42, v83, v79
	v_sub_f16_e32 v78, v37, v21
	v_sub_f16_e32 v84, v23, v40
	v_add_f16_e32 v22, v22, v21
	v_add_f16_e32 v42, v42, v17
	;; [unrolled: 1-line block ×3, first 2 shown]
	v_sub_f16_e32 v78, v79, v17
	v_sub_f16_e32 v85, v18, v80
	v_add_f16_e32 v22, v22, v40
	v_add_f16_e32 v42, v42, v80
	;; [unrolled: 1-line block ×6, first 2 shown]
	ds_write2_b32 v77, v87, v94 offset1:25
	v_pack_b32_f16 v22, v22, v42
	v_sub_f16_e32 v42, v79, v18
	v_fma_f16 v86, v78, -0.5, v83
	v_sub_f16_e32 v87, v37, v23
	v_add_u32_sdwa v19, v19, v43 dst_sel:DWORD dst_unused:UNUSED_PAD src0_sel:DWORD src1_sel:BYTE_0
	v_fma_f16 v43, v42, s0, v81
	v_sub_f16_e32 v44, v17, v80
	v_fma_f16 v78, v87, s12, v86
	v_sub_f16_e32 v88, v21, v40
	v_fma_f16 v43, v44, s1, v43
	v_fma_f16 v78, v88, s7, v78
	;; [unrolled: 1-line block ×4, first 2 shown]
	v_pack_b32_f16 v43, v43, v78
	v_lshl_add_u32 v78, v19, 2, v33
	v_sub_f16_e32 v19, v21, v37
	v_sub_f16_e32 v21, v40, v23
	ds_write2_b32 v78, v22, v43 offset1:25
	v_add_f16_e32 v19, v19, v21
	v_fma_f16 v21, v44, s12, v82
	v_fma_f16 v22, v44, s0, v82
	;; [unrolled: 1-line block ×6, first 2 shown]
	v_add_f16_e32 v22, v79, v18
	v_fma_f16 v22, v22, -0.5, v83
	v_sub_f16_e32 v17, v17, v79
	v_sub_f16_e32 v18, v80, v18
	v_add_f16_e32 v17, v17, v18
	v_fma_f16 v18, v88, s0, v22
	v_fma_f16 v22, v88, s12, v22
	;; [unrolled: 1-line block ×6, first 2 shown]
	v_pack_b32_f16 v18, v21, v18
	v_pack_b32_f16 v17, v19, v17
	ds_write2_b32 v78, v18, v17 offset0:50 offset1:75
	v_lshrrev_b32_e32 v17, 16, v38
	v_mul_f16_sdwa v19, v38, v28 dst_sel:DWORD dst_unused:UNUSED_PAD src0_sel:DWORD src1_sel:WORD_1
	v_mul_f16_sdwa v18, v17, v28 dst_sel:DWORD dst_unused:UNUSED_PAD src0_sel:DWORD src1_sel:WORD_1
	v_fma_f16 v17, v17, v28, v19
	v_lshrrev_b32_e32 v19, 16, v20
	v_mul_f16_sdwa v21, v19, v29 dst_sel:DWORD dst_unused:UNUSED_PAD src0_sel:DWORD src1_sel:WORD_1
	v_fma_f16 v21, v20, v29, -v21
	v_mul_f16_sdwa v20, v20, v29 dst_sel:DWORD dst_unused:UNUSED_PAD src0_sel:DWORD src1_sel:WORD_1
	v_fma_f16 v19, v19, v29, v20
	v_lshrrev_b32_e32 v20, 16, v41
	v_mul_f16_sdwa v23, v41, v30 dst_sel:DWORD dst_unused:UNUSED_PAD src0_sel:DWORD src1_sel:WORD_1
	v_fma_f16 v18, v38, v28, -v18
	v_mul_f16_sdwa v22, v20, v30 dst_sel:DWORD dst_unused:UNUSED_PAD src0_sel:DWORD src1_sel:WORD_1
	v_fma_f16 v20, v20, v30, v23
	v_lshrrev_b32_e32 v23, 16, v98
	v_mul_f16_sdwa v38, v98, v31 dst_sel:DWORD dst_unused:UNUSED_PAD src0_sel:DWORD src1_sel:WORD_1
	v_mul_f16_sdwa v37, v23, v31 dst_sel:DWORD dst_unused:UNUSED_PAD src0_sel:DWORD src1_sel:WORD_1
	v_fma_f16 v23, v23, v31, v38
	v_fma_f16 v38, v42, s12, v81
	;; [unrolled: 1-line block ×3, first 2 shown]
	v_fma_f16 v22, v41, v30, -v22
	v_fma_f16 v37, v98, v31, -v37
	v_fma_f16 v38, v44, s7, v38
	v_fma_f16 v40, v88, s1, v40
	;; [unrolled: 1-line block ×4, first 2 shown]
	v_add_f16_e32 v41, v21, v22
	v_add_f16_e32 v42, v18, v37
	v_lshrrev_b32_e32 v43, 16, v16
	v_fma_f16 v41, v41, -0.5, v16
	v_fma_f16 v42, v42, -0.5, v16
	v_add_f16_e32 v16, v16, v18
	v_pack_b32_f16 v38, v38, v40
	v_add_f16_e32 v40, v43, v17
	v_add_f16_e32 v16, v16, v21
	;; [unrolled: 1-line block ×5, first 2 shown]
	v_sub_f16_e32 v44, v18, v21
	v_sub_f16_e32 v79, v37, v22
	v_add_f16_e32 v16, v16, v37
	v_add_f16_e32 v40, v40, v23
	v_add_f16_e32 v82, v19, v20
	v_add_f16_e32 v44, v44, v79
	v_sub_f16_e32 v79, v17, v19
	v_sub_f16_e32 v80, v23, v20
	v_pack_b32_f16 v16, v16, v40
	v_sub_f16_e32 v40, v17, v23
	v_fma_f16 v82, v82, -0.5, v43
	v_sub_f16_e32 v83, v18, v37
	v_add_f16_e32 v80, v79, v80
	v_fma_f16 v79, v40, s0, v41
	v_sub_f16_e32 v81, v19, v20
	v_fma_f16 v84, v83, s12, v82
	v_sub_f16_e32 v85, v21, v22
	v_fma_f16 v79, v81, s1, v79
	v_fma_f16 v84, v85, s7, v84
	ds_write_b32 v78, v38 offset:400
	v_mad_legacy_u16 v38, v95, s15, v96
	v_fma_f16 v79, v44, s6, v79
	v_fma_f16 v84, v80, s6, v84
	v_pack_b32_f16 v84, v79, v84
	v_lshl_add_u32 v79, v38, 2, v33
	ds_write2_b32 v79, v16, v84 offset1:25
	v_sub_f16_e32 v16, v21, v18
	v_sub_f16_e32 v18, v22, v37
	v_add_f16_e32 v16, v16, v18
	v_fma_f16 v18, v81, s12, v42
	v_fma_f16 v21, v81, s0, v42
	v_fma_f16 v18, v40, s1, v18
	v_fma_f16 v21, v40, s7, v21
	v_fma_f16 v18, v16, s6, v18
	v_fma_f16 v16, v16, s6, v21
	v_add_f16_e32 v21, v17, v23
	v_fma_f16 v21, v21, -0.5, v43
	v_sub_f16_e32 v17, v19, v17
	v_sub_f16_e32 v19, v20, v23
	v_add_f16_e32 v17, v17, v19
	v_fma_f16 v19, v85, s0, v21
	v_fma_f16 v20, v85, s12, v21
	;; [unrolled: 1-line block ×6, first 2 shown]
	v_pack_b32_f16 v18, v18, v19
	v_pack_b32_f16 v16, v16, v17
	ds_write2_b32 v79, v18, v16 offset0:50 offset1:75
	v_fma_f16 v16, v40, s12, v41
	v_fma_f16 v17, v83, s0, v82
	;; [unrolled: 1-line block ×6, first 2 shown]
	v_pack_b32_f16 v16, v16, v17
	ds_write_b32 v79, v16 offset:400
	v_lshlrev_b32_e32 v16, 4, v63
	s_waitcnt lgkmcnt(0)
	s_barrier
	global_load_dwordx4 v[16:19], v16, s[2:3] offset:480
	v_mul_u32_u24_sdwa v20, v34, s13 dst_sel:DWORD dst_unused:UNUSED_PAD src0_sel:WORD_0 src1_sel:DWORD
	v_sub_u16_sdwa v21, v34, v20 dst_sel:DWORD dst_unused:UNUSED_PAD src0_sel:DWORD src1_sel:WORD_1
	v_lshrrev_b16_e32 v21, 1, v21
	v_add_u16_sdwa v20, v21, v20 dst_sel:DWORD dst_unused:UNUSED_PAD src0_sel:DWORD src1_sel:WORD_1
	v_lshrrev_b16_e32 v20, 6, v20
	v_mul_lo_u16_e32 v20, 0x7d, v20
	v_sub_u16_e32 v86, v34, v20
	v_lshlrev_b16_e32 v20, 4, v86
	v_add_co_u32_e32 v20, vcc, s2, v20
	v_addc_co_u32_e32 v21, vcc, 0, v97, vcc
	global_load_dwordx4 v[20:23], v[20:21], off offset:480
	ds_read2_b32 v[37:38], v68 offset0:122 offset1:247
	ds_read2_b32 v[40:41], v67 offset0:110 offset1:235
	s_movk_i32 s13, 0x3aee
	s_mov_b32 s15, 0xbaee
	s_waitcnt lgkmcnt(1)
	v_lshrrev_b32_e32 v42, 16, v38
	s_waitcnt lgkmcnt(0)
	v_lshrrev_b32_e32 v44, 16, v40
	s_waitcnt vmcnt(1)
	v_mul_f16_sdwa v43, v38, v16 dst_sel:DWORD dst_unused:UNUSED_PAD src0_sel:DWORD src1_sel:WORD_1
	v_fma_f16 v87, v42, v16, v43
	v_mul_f16_sdwa v42, v42, v16 dst_sel:DWORD dst_unused:UNUSED_PAD src0_sel:DWORD src1_sel:WORD_1
	v_fma_f16 v38, v38, v16, -v42
	ds_read2_b32 v[42:43], v66 offset0:104 offset1:229
	v_mul_f16_sdwa v80, v40, v17 dst_sel:DWORD dst_unused:UNUSED_PAD src0_sel:DWORD src1_sel:WORD_1
	v_fma_f16 v88, v44, v17, v80
	ds_read2_b32 v[80:81], v64 offset0:92 offset1:217
	v_mul_f16_sdwa v44, v44, v17 dst_sel:DWORD dst_unused:UNUSED_PAD src0_sel:DWORD src1_sel:WORD_1
	v_fma_f16 v40, v40, v17, -v44
	s_waitcnt lgkmcnt(1)
	v_lshrrev_b32_e32 v44, 16, v43
	v_mul_f16_sdwa v82, v43, v18 dst_sel:DWORD dst_unused:UNUSED_PAD src0_sel:DWORD src1_sel:WORD_1
	v_fma_f16 v89, v44, v18, v82
	v_mul_f16_sdwa v44, v44, v18 dst_sel:DWORD dst_unused:UNUSED_PAD src0_sel:DWORD src1_sel:WORD_1
	v_fma_f16 v90, v43, v18, -v44
	s_waitcnt lgkmcnt(0)
	v_lshrrev_b32_e32 v43, 16, v80
	v_mul_f16_sdwa v44, v80, v19 dst_sel:DWORD dst_unused:UNUSED_PAD src0_sel:DWORD src1_sel:WORD_1
	v_fma_f16 v91, v43, v19, v44
	v_mul_f16_sdwa v43, v43, v19 dst_sel:DWORD dst_unused:UNUSED_PAD src0_sel:DWORD src1_sel:WORD_1
	v_fma_f16 v80, v80, v19, -v43
	ds_read2_b32 v[43:44], v45 offset1:125
	v_sub_f16_e32 v82, v38, v40
	v_sub_f16_e32 v83, v80, v90
	v_add_f16_e32 v92, v82, v83
	v_sub_f16_e32 v82, v87, v88
	v_sub_f16_e32 v83, v91, v89
	s_waitcnt lgkmcnt(0)
	v_lshrrev_b32_e32 v94, 16, v43
	v_add_f16_e32 v93, v82, v83
	v_add_f16_e32 v82, v43, v38
	;; [unrolled: 1-line block ×9, first 2 shown]
	v_pack_b32_f16 v95, v82, v83
	v_add_f16_e32 v82, v40, v90
	v_sub_f16_e32 v100, v38, v80
	v_sub_f16_e32 v101, v40, v90
	v_sub_f16_e32 v40, v40, v38
	v_add_f16_e32 v38, v38, v80
	v_sub_f16_e32 v98, v88, v89
	v_fma_f16 v38, v38, -0.5, v43
	v_fma_f16 v96, v82, -0.5, v43
	v_sub_f16_e32 v97, v87, v91
	v_sub_f16_e32 v80, v90, v80
	v_fma_f16 v43, v98, s12, v38
	v_fma_f16 v38, v98, s0, v38
	v_add_f16_e32 v83, v88, v89
	v_add_f16_e32 v40, v40, v80
	v_fma_f16 v43, v97, s1, v43
	v_fma_f16 v38, v97, s7, v38
	v_fma_f16 v99, v83, -0.5, v94
	v_fma_f16 v43, v40, s6, v43
	v_fma_f16 v38, v40, s6, v38
	v_add_f16_e32 v40, v87, v91
	v_fma_f16 v82, v97, s0, v96
	v_fma_f16 v83, v100, s12, v99
	v_fma_f16 v40, v40, -0.5, v94
	v_sub_f16_e32 v80, v88, v87
	v_sub_f16_e32 v87, v89, v91
	v_fma_f16 v82, v98, s1, v82
	v_fma_f16 v83, v101, s7, v83
	v_add_f16_e32 v80, v80, v87
	v_fma_f16 v87, v101, s0, v40
	v_fma_f16 v40, v101, s12, v40
	;; [unrolled: 1-line block ×6, first 2 shown]
	v_pack_b32_f16 v102, v82, v83
	ds_read_b32 v103, v45 offset:7000
	ds_read2_b32 v[82:83], v59 offset0:116 offset1:241
	ds_read2_b32 v[84:85], v57 offset0:98 offset1:223
	v_fma_f16 v87, v80, s6, v87
	v_fma_f16 v40, v80, s6, v40
	v_pack_b32_f16 v43, v43, v87
	v_pack_b32_f16 v38, v38, v40
	s_waitcnt vmcnt(0) lgkmcnt(0)
	s_barrier
	ds_write2_b32 v68, v43, v38 offset0:122 offset1:247
	v_lshrrev_b32_e32 v38, 16, v41
	v_mul_f16_sdwa v40, v38, v17 dst_sel:DWORD dst_unused:UNUSED_PAD src0_sel:DWORD src1_sel:WORD_1
	v_fma_f16 v40, v41, v17, -v40
	v_mul_f16_sdwa v41, v41, v17 dst_sel:DWORD dst_unused:UNUSED_PAD src0_sel:DWORD src1_sel:WORD_1
	v_lshrrev_b32_e32 v87, 16, v82
	v_mul_f16_sdwa v88, v82, v16 dst_sel:DWORD dst_unused:UNUSED_PAD src0_sel:DWORD src1_sel:WORD_1
	v_fma_f16 v38, v38, v17, v41
	v_lshrrev_b32_e32 v41, 16, v81
	v_fma_f16 v88, v87, v16, v88
	v_mul_f16_sdwa v87, v87, v16 dst_sel:DWORD dst_unused:UNUSED_PAD src0_sel:DWORD src1_sel:WORD_1
	v_mul_f16_sdwa v43, v41, v19 dst_sel:DWORD dst_unused:UNUSED_PAD src0_sel:DWORD src1_sel:WORD_1
	;; [unrolled: 1-line block ×3, first 2 shown]
	v_fma_f16 v82, v82, v16, -v87
	v_lshrrev_b32_e32 v87, 16, v84
	v_mul_f16_sdwa v89, v84, v18 dst_sel:DWORD dst_unused:UNUSED_PAD src0_sel:DWORD src1_sel:WORD_1
	v_fma_f16 v43, v81, v19, -v43
	v_fma_f16 v41, v41, v19, v80
	v_fma_f16 v80, v97, s12, v96
	;; [unrolled: 1-line block ×4, first 2 shown]
	v_mul_f16_sdwa v87, v87, v18 dst_sel:DWORD dst_unused:UNUSED_PAD src0_sel:DWORD src1_sel:WORD_1
	v_fma_f16 v80, v98, s7, v80
	v_fma_f16 v81, v101, s1, v81
	v_fma_f16 v84, v84, v18, -v87
	v_fma_f16 v80, v92, s6, v80
	v_fma_f16 v81, v93, s6, v81
	v_add_f16_e32 v87, v40, v84
	v_add_f16_e32 v90, v82, v43
	v_lshrrev_b32_e32 v91, 16, v44
	v_fma_f16 v87, v87, -0.5, v44
	v_fma_f16 v90, v90, -0.5, v44
	v_add_f16_e32 v44, v44, v82
	v_pack_b32_f16 v80, v80, v81
	v_add_f16_e32 v81, v91, v88
	v_add_f16_e32 v44, v44, v40
	;; [unrolled: 1-line block ×7, first 2 shown]
	v_pack_b32_f16 v44, v44, v81
	ds_write2_b32 v59, v80, v44 offset0:116 offset1:241
	v_sub_f16_e32 v44, v82, v40
	v_sub_f16_e32 v80, v43, v84
	v_add_f16_e32 v44, v44, v80
	v_sub_f16_e32 v80, v40, v82
	v_sub_f16_e32 v81, v84, v43
	v_add_f16_e32 v80, v80, v81
	v_sub_f16_e32 v43, v82, v43
	v_sub_f16_e32 v81, v88, v38
	v_sub_f16_e32 v82, v41, v89
	v_sub_f16_e32 v40, v40, v84
	v_add_f16_e32 v81, v81, v82
	v_add_f16_e32 v82, v38, v89
	;; [unrolled: 1-line block ×3, first 2 shown]
	v_fma_f16 v82, v82, -0.5, v91
	v_fma_f16 v84, v84, -0.5, v91
	v_sub_f16_e32 v91, v88, v41
	v_sub_f16_e32 v88, v38, v88
	v_sub_f16_e32 v41, v89, v41
	v_sub_f16_e32 v38, v38, v89
	v_add_f16_e32 v41, v88, v41
	v_fma_f16 v88, v91, s0, v87
	v_fma_f16 v89, v43, s12, v82
	;; [unrolled: 1-line block ×7, first 2 shown]
	v_pack_b32_f16 v88, v88, v89
	v_fma_f16 v89, v38, s12, v90
	v_fma_f16 v87, v38, s7, v87
	;; [unrolled: 1-line block ×16, first 2 shown]
	v_pack_b32_f16 v38, v38, v40
	v_pack_b32_f16 v40, v44, v80
	v_fma_f16 v92, v41, s6, v92
	ds_write2_b32 v66, v38, v40 offset0:104 offset1:229
	v_lshrrev_b32_e32 v38, 16, v83
	v_mul_f16_sdwa v41, v83, v20 dst_sel:DWORD dst_unused:UNUSED_PAD src0_sel:DWORD src1_sel:WORD_1
	v_mul_f16_sdwa v40, v38, v20 dst_sel:DWORD dst_unused:UNUSED_PAD src0_sel:DWORD src1_sel:WORD_1
	v_fma_f16 v38, v38, v20, v41
	v_lshrrev_b32_e32 v41, 16, v42
	v_mul_f16_sdwa v43, v41, v21 dst_sel:DWORD dst_unused:UNUSED_PAD src0_sel:DWORD src1_sel:WORD_1
	v_fma_f16 v43, v42, v21, -v43
	v_mul_f16_sdwa v42, v42, v21 dst_sel:DWORD dst_unused:UNUSED_PAD src0_sel:DWORD src1_sel:WORD_1
	v_fma_f16 v41, v41, v21, v42
	v_lshrrev_b32_e32 v42, 16, v85
	v_mul_f16_sdwa v80, v85, v22 dst_sel:DWORD dst_unused:UNUSED_PAD src0_sel:DWORD src1_sel:WORD_1
	v_mul_f16_sdwa v44, v42, v22 dst_sel:DWORD dst_unused:UNUSED_PAD src0_sel:DWORD src1_sel:WORD_1
	v_fma_f16 v42, v42, v22, v80
	v_lshrrev_b32_e32 v80, 16, v103
	v_mul_f16_sdwa v81, v80, v23 dst_sel:DWORD dst_unused:UNUSED_PAD src0_sel:DWORD src1_sel:WORD_1
	v_fma_f16 v44, v85, v22, -v44
	v_fma_f16 v82, v103, v23, -v81
	v_mul_f16_sdwa v81, v103, v23 dst_sel:DWORD dst_unused:UNUSED_PAD src0_sel:DWORD src1_sel:WORD_1
	v_fma_f16 v40, v83, v20, -v40
	v_fma_f16 v83, v80, v23, v81
	v_add_f16_e32 v80, v43, v44
	v_fma_f16 v84, v80, -0.5, v37
	v_add_f16_e32 v80, v40, v82
	v_pack_b32_f16 v89, v89, v92
	v_fma_f16 v85, v80, -0.5, v37
	v_sub_f16_e32 v80, v40, v43
	v_sub_f16_e32 v81, v82, v44
	ds_write2_b32 v67, v88, v89 offset0:110 offset1:235
	v_lshrrev_b32_e32 v87, 16, v37
	v_add_f16_e32 v37, v37, v40
	v_add_f16_e32 v88, v80, v81
	v_sub_f16_e32 v80, v38, v41
	v_sub_f16_e32 v81, v83, v42
	v_add_f16_e32 v89, v80, v81
	v_lshl_add_u32 v80, v86, 2, v33
	v_add_f16_e32 v33, v37, v43
	v_add_f16_e32 v37, v87, v38
	;; [unrolled: 1-line block ×8, first 2 shown]
	v_pack_b32_f16 v33, v33, v37
	v_sub_f16_e32 v37, v38, v83
	v_fma_f16 v90, v90, -0.5, v87
	v_sub_f16_e32 v91, v40, v82
	v_fma_f16 v81, v37, s0, v84
	v_sub_f16_e32 v86, v41, v42
	v_fma_f16 v92, v91, s12, v90
	;; [unrolled: 2-line block ×3, first 2 shown]
	v_fma_f16 v92, v93, s7, v92
	v_fma_f16 v81, v88, s6, v81
	v_fma_f16 v92, v89, s6, v92
	v_pack_b32_f16 v92, v81, v92
	v_add_u32_e32 v81, 0x1200, v80
	ds_write2_b32 v45, v95, v102 offset1:125
	ds_write2_b32 v81, v33, v92 offset0:98 offset1:223
	v_sub_f16_e32 v33, v43, v40
	v_sub_f16_e32 v40, v44, v82
	v_add_f16_e32 v33, v33, v40
	v_fma_f16 v40, v86, s12, v85
	v_fma_f16 v43, v86, s0, v85
	v_fma_f16 v40, v37, s1, v40
	v_fma_f16 v43, v37, s7, v43
	v_fma_f16 v40, v33, s6, v40
	v_fma_f16 v33, v33, s6, v43
	v_add_f16_e32 v43, v38, v83
	v_fma_f16 v43, v43, -0.5, v87
	v_sub_f16_e32 v38, v41, v38
	v_sub_f16_e32 v41, v42, v83
	v_add_f16_e32 v38, v38, v41
	v_fma_f16 v41, v93, s0, v43
	v_fma_f16 v42, v93, s12, v43
	;; [unrolled: 1-line block ×6, first 2 shown]
	v_pack_b32_f16 v40, v40, v41
	v_pack_b32_f16 v33, v33, v38
	v_add_u32_e32 v82, 0x1600, v80
	ds_write2_b32 v82, v40, v33 offset0:92 offset1:217
	v_fma_f16 v33, v37, s12, v84
	v_fma_f16 v37, v91, s0, v90
	v_fma_f16 v33, v86, s7, v33
	v_fma_f16 v37, v93, s1, v37
	v_fma_f16 v33, v88, s6, v33
	v_fma_f16 v37, v89, s6, v37
	v_pack_b32_f16 v33, v33, v37
	v_lshlrev_b32_e32 v40, 3, v34
	v_lshlrev_b32_e32 v83, 3, v63
	ds_write_b32 v80, v33 offset:7000
	s_waitcnt lgkmcnt(0)
	s_barrier
	v_add_u32_e32 v43, 0xbb8, v83
	global_load_dwordx2 v[37:38], v40, s[2:3] offset:2480
	global_load_dwordx2 v[33:34], v43, s[2:3] offset:2480
	;; [unrolled: 1-line block ×3, first 2 shown]
	ds_read2_b32 v[43:44], v57 offset0:98 offset1:223
	global_load_dwordx2 v[39:40], v39, s[2:3] offset:2480
	s_waitcnt lgkmcnt(0)
	v_lshrrev_b32_e32 v84, 16, v43
	v_lshrrev_b32_e32 v86, 16, v44
	s_waitcnt vmcnt(1)
	v_mul_f16_sdwa v85, v43, v42 dst_sel:DWORD dst_unused:UNUSED_PAD src0_sel:DWORD src1_sel:WORD_1
	v_fma_f16 v88, v84, v42, v85
	v_mul_f16_sdwa v84, v84, v42 dst_sel:DWORD dst_unused:UNUSED_PAD src0_sel:DWORD src1_sel:WORD_1
	v_fma_f16 v43, v43, v42, -v84
	ds_read2_b32 v[84:85], v59 offset0:116 offset1:241
	s_waitcnt vmcnt(0)
	v_mul_f16_sdwa v87, v86, v40 dst_sel:DWORD dst_unused:UNUSED_PAD src0_sel:DWORD src1_sel:WORD_1
	v_fma_f16 v93, v44, v40, -v87
	v_mul_f16_sdwa v44, v44, v40 dst_sel:DWORD dst_unused:UNUSED_PAD src0_sel:DWORD src1_sel:WORD_1
	v_fma_f16 v94, v86, v40, v44
	ds_read2_b32 v[86:87], v45 offset1:125
	s_waitcnt lgkmcnt(1)
	v_lshrrev_b32_e32 v44, 16, v85
	v_mul_f16_sdwa v89, v85, v41 dst_sel:DWORD dst_unused:UNUSED_PAD src0_sel:DWORD src1_sel:WORD_1
	v_fma_f16 v89, v44, v41, v89
	v_mul_f16_sdwa v44, v44, v41 dst_sel:DWORD dst_unused:UNUSED_PAD src0_sel:DWORD src1_sel:WORD_1
	v_fma_f16 v44, v85, v41, -v44
	v_add_f16_e32 v85, v44, v43
	s_waitcnt lgkmcnt(0)
	v_fma_f16 v85, v85, -0.5, v86
	v_sub_f16_e32 v90, v89, v88
	v_fma_f16 v91, v90, s13, v85
	v_fma_f16 v95, v90, s15, v85
	v_lshrrev_b32_e32 v85, 16, v86
	v_add_f16_e32 v90, v85, v89
	v_add_f16_e32 v90, v90, v88
	v_add_f16_e32 v88, v89, v88
	v_fma_f16 v88, v88, -0.5, v85
	v_add_f16_e32 v89, v86, v44
	ds_read2_b32 v[85:86], v67 offset0:110 offset1:235
	v_add_f16_e32 v89, v89, v43
	v_sub_f16_e32 v43, v44, v43
	v_fma_f16 v92, v43, s15, v88
	v_fma_f16 v96, v43, s13, v88
	s_waitcnt lgkmcnt(0)
	v_lshrrev_b32_e32 v43, 16, v85
	v_mul_f16_sdwa v44, v85, v39 dst_sel:DWORD dst_unused:UNUSED_PAD src0_sel:DWORD src1_sel:WORD_1
	v_fma_f16 v97, v43, v39, v44
	v_mul_f16_sdwa v43, v43, v39 dst_sel:DWORD dst_unused:UNUSED_PAD src0_sel:DWORD src1_sel:WORD_1
	v_fma_f16 v85, v85, v39, -v43
	v_add_u32_e32 v43, 0xfa0, v83
	global_load_dwordx2 v[43:44], v43, s[2:3] offset:2480
	v_lshrrev_b32_e32 v98, 16, v87
	v_add_f16_e32 v83, v85, v93
	v_add_f16_e32 v99, v87, v85
	v_pack_b32_f16 v95, v95, v96
	v_add_f16_e32 v96, v98, v97
	v_fma_f16 v83, v83, -0.5, v87
	v_pack_b32_f16 v100, v89, v90
	v_pack_b32_f16 v101, v91, v92
	ds_read2_b32 v[87:88], v68 offset0:122 offset1:247
	ds_read2_b32 v[89:90], v64 offset0:92 offset1:217
	ds_read2_b32 v[91:92], v66 offset0:104 offset1:229
	ds_write_b32 v45, v95 offset:5000
	v_add_f16_e32 v95, v99, v93
	v_add_f16_e32 v96, v96, v94
	v_pack_b32_f16 v95, v95, v96
	ds_write_b32 v45, v101 offset:2500
	ds_read_b32 v96, v45 offset:7000
	ds_write2_b32 v45, v100, v95 offset1:125
	v_lshrrev_b32_e32 v95, 16, v86
	v_mul_f16_sdwa v99, v95, v37 dst_sel:DWORD dst_unused:UNUSED_PAD src0_sel:DWORD src1_sel:WORD_1
	v_fma_f16 v99, v86, v37, -v99
	v_mul_f16_sdwa v86, v86, v37 dst_sel:DWORD dst_unused:UNUSED_PAD src0_sel:DWORD src1_sel:WORD_1
	v_fma_f16 v86, v95, v37, v86
	v_sub_f16_e32 v95, v97, v94
	v_add_f16_e32 v94, v97, v94
	v_fma_f16 v94, v94, -0.5, v98
	v_sub_f16_e32 v85, v85, v93
	v_fma_f16 v93, v95, s13, v83
	v_fma_f16 v97, v85, s15, v94
	v_pack_b32_f16 v93, v93, v97
	s_waitcnt lgkmcnt(5)
	v_lshrrev_b32_e32 v97, 16, v89
	v_mul_f16_sdwa v98, v89, v38 dst_sel:DWORD dst_unused:UNUSED_PAD src0_sel:DWORD src1_sel:WORD_1
	v_fma_f16 v98, v97, v38, v98
	v_mul_f16_sdwa v97, v97, v38 dst_sel:DWORD dst_unused:UNUSED_PAD src0_sel:DWORD src1_sel:WORD_1
	v_fma_f16 v89, v89, v38, -v97
	v_add_f16_e32 v97, v99, v89
	v_lshrrev_b32_e32 v100, 16, v87
	v_add_f16_e32 v101, v86, v98
	v_fma_f16 v97, v97, -0.5, v87
	v_fma_f16 v101, v101, -0.5, v100
	v_sub_f16_e32 v102, v86, v98
	v_sub_f16_e32 v104, v99, v89
	v_fma_f16 v103, v102, s13, v97
	v_fma_f16 v105, v104, s15, v101
	v_pack_b32_f16 v103, v103, v105
	ds_write2_b32 v67, v93, v103 offset0:110 offset1:235
	v_fma_f16 v83, v95, s15, v83
	v_fma_f16 v85, v85, s13, v94
	;; [unrolled: 1-line block ×4, first 2 shown]
	v_pack_b32_f16 v85, v83, v85
	v_pack_b32_f16 v93, v93, v94
	v_add_u32_e32 v83, 0x1400, v45
	ds_write2_b32 v83, v85, v93 offset0:95 offset1:220
	v_lshrrev_b32_e32 v85, 16, v90
	v_mul_f16_sdwa v93, v85, v34 dst_sel:DWORD dst_unused:UNUSED_PAD src0_sel:DWORD src1_sel:WORD_1
	v_fma_f16 v93, v90, v34, -v93
	v_mul_f16_sdwa v90, v90, v34 dst_sel:DWORD dst_unused:UNUSED_PAD src0_sel:DWORD src1_sel:WORD_1
	v_add_f16_e32 v87, v87, v99
	v_fma_f16 v85, v85, v34, v90
	v_add_f16_e32 v87, v87, v89
	s_waitcnt lgkmcnt(6)
	v_lshrrev_b32_e32 v89, 16, v91
	v_mul_f16_sdwa v90, v91, v33 dst_sel:DWORD dst_unused:UNUSED_PAD src0_sel:DWORD src1_sel:WORD_1
	v_fma_f16 v90, v89, v33, v90
	v_mul_f16_sdwa v89, v89, v33 dst_sel:DWORD dst_unused:UNUSED_PAD src0_sel:DWORD src1_sel:WORD_1
	v_fma_f16 v89, v91, v33, -v89
	v_add_f16_e32 v86, v100, v86
	v_add_f16_e32 v91, v89, v93
	;; [unrolled: 1-line block ×3, first 2 shown]
	v_fma_f16 v91, v91, -0.5, v88
	v_lshrrev_b32_e32 v94, 16, v88
	v_add_f16_e32 v88, v88, v89
	v_pack_b32_f16 v86, v87, v86
	v_add_f16_e32 v87, v88, v93
	v_add_f16_e32 v88, v94, v90
	;; [unrolled: 1-line block ×3, first 2 shown]
	v_pack_b32_f16 v87, v87, v88
	ds_write2_b32 v68, v86, v87 offset0:122 offset1:247
	v_lshrrev_b32_e32 v86, 16, v92
	v_sub_f16_e32 v89, v89, v93
	v_lshrrev_b32_e32 v93, 16, v84
	s_waitcnt vmcnt(0)
	v_mul_f16_sdwa v88, v92, v43 dst_sel:DWORD dst_unused:UNUSED_PAD src0_sel:DWORD src1_sel:WORD_1
	v_mul_f16_sdwa v87, v86, v43 dst_sel:DWORD dst_unused:UNUSED_PAD src0_sel:DWORD src1_sel:WORD_1
	v_fma_f16 v86, v86, v43, v88
	s_waitcnt lgkmcnt(4)
	v_lshrrev_b32_e32 v88, 16, v96
	v_mul_f16_sdwa v95, v96, v44 dst_sel:DWORD dst_unused:UNUSED_PAD src0_sel:DWORD src1_sel:WORD_1
	v_fma_f16 v87, v92, v43, -v87
	v_mul_f16_sdwa v92, v88, v44 dst_sel:DWORD dst_unused:UNUSED_PAD src0_sel:DWORD src1_sel:WORD_1
	v_fma_f16 v88, v88, v44, v95
	v_sub_f16_e32 v95, v90, v85
	v_add_f16_e32 v85, v90, v85
	v_fma_f16 v92, v96, v44, -v92
	v_fma_f16 v85, v85, -0.5, v94
	v_fma_f16 v90, v89, s15, v85
	v_fma_f16 v85, v89, s13, v85
	v_add_f16_e32 v89, v87, v92
	v_fma_f16 v89, v89, -0.5, v84
	v_add_f16_e32 v84, v84, v87
	v_add_f16_e32 v94, v93, v86
	v_fma_f16 v96, v95, s13, v91
	v_fma_f16 v91, v95, s15, v91
	v_add_f16_e32 v94, v94, v88
	v_sub_f16_e32 v95, v86, v88
	v_add_f16_e32 v86, v86, v88
	v_add_f16_e32 v84, v84, v92
	v_fma_f16 v86, v86, -0.5, v93
	v_sub_f16_e32 v87, v87, v92
	v_pack_b32_f16 v85, v91, v85
	v_pack_b32_f16 v84, v84, v94
	ds_write_b32 v45, v85 offset:6500
	ds_write_b32 v45, v84 offset:2000
	v_fma_f16 v84, v95, s13, v89
	v_fma_f16 v85, v87, s15, v86
	v_pack_b32_f16 v88, v96, v90
	v_pack_b32_f16 v84, v84, v85
	ds_write2_b32 v66, v88, v84 offset0:104 offset1:229
	v_fma_f16 v84, v95, s15, v89
	v_fma_f16 v85, v87, s13, v86
	v_pack_b32_f16 v84, v84, v85
	ds_write_b32 v45, v84 offset:7000
	s_waitcnt lgkmcnt(0)
	s_barrier
	global_load_dword v86, v[35:36], off offset:3404
	s_movk_i32 s2, 0x1d4c
	v_add_co_u32_e32 v35, vcc, s2, v70
	v_addc_co_u32_e32 v36, vcc, 0, v71, vcc
	global_load_dword v87, v[35:36], off offset:500
	global_load_dword v88, v[35:36], off offset:3000
	;; [unrolled: 1-line block ×3, first 2 shown]
	s_movk_i32 s2, 0x3000
	v_add_co_u32_e32 v84, vcc, s2, v70
	v_addc_co_u32_e32 v85, vcc, 0, v71, vcc
	global_load_dword v90, v[84:85], off offset:1212
	global_load_dword v91, v[84:85], off offset:1712
	global_load_dword v92, v[35:36], off offset:2500
	global_load_dword v93, v[35:36], off offset:1500
	global_load_dword v94, v[35:36], off offset:1000
	global_load_dword v95, v[35:36], off offset:2000
	s_movk_i32 s2, 0x2000
	v_add_co_u32_e32 v70, vcc, s2, v70
	v_addc_co_u32_e32 v71, vcc, 0, v71, vcc
	global_load_dword v96, v[70:71], off offset:3808
	ds_read2_b32 v[70:71], v45 offset1:125
	global_load_dword v97, v[84:85], off offset:212
	global_load_dword v98, v[35:36], off offset:4000
	;; [unrolled: 1-line block ×4, first 2 shown]
	s_mov_b32 s2, 0x9cbd821e
	s_mov_b32 s3, 0x3f4179ec
	s_waitcnt lgkmcnt(0)
	v_lshrrev_b32_e32 v35, 16, v70
	v_lshrrev_b32_e32 v85, 16, v71
	s_waitcnt vmcnt(14)
	v_mul_f16_sdwa v36, v70, v86 dst_sel:DWORD dst_unused:UNUSED_PAD src0_sel:DWORD src1_sel:WORD_1
	v_fma_f16 v84, v35, v86, v36
	v_mul_f16_sdwa v35, v35, v86 dst_sel:DWORD dst_unused:UNUSED_PAD src0_sel:DWORD src1_sel:WORD_1
	v_fma_f16 v70, v70, v86, -v35
	s_waitcnt vmcnt(13)
	v_mul_f16_sdwa v35, v85, v87 dst_sel:DWORD dst_unused:UNUSED_PAD src0_sel:DWORD src1_sel:WORD_1
	v_fma_f16 v86, v71, v87, -v35
	ds_read2_b32 v[35:36], v67 offset0:110 offset1:235
	v_mul_f16_sdwa v71, v71, v87 dst_sel:DWORD dst_unused:UNUSED_PAD src0_sel:DWORD src1_sel:WORD_1
	v_fma_f16 v71, v85, v87, v71
	v_pack_b32_f16 v70, v70, v84
	v_pack_b32_f16 v71, v86, v71
	ds_write2_b32 v45, v70, v71 offset1:125
	s_waitcnt lgkmcnt(1)
	v_lshrrev_b32_e32 v70, 16, v35
	s_waitcnt vmcnt(12)
	v_mul_f16_sdwa v71, v35, v88 dst_sel:DWORD dst_unused:UNUSED_PAD src0_sel:DWORD src1_sel:WORD_1
	v_fma_f16 v71, v70, v88, v71
	v_mul_f16_sdwa v70, v70, v88 dst_sel:DWORD dst_unused:UNUSED_PAD src0_sel:DWORD src1_sel:WORD_1
	v_lshrrev_b32_e32 v84, 16, v36
	v_fma_f16 v70, v35, v88, -v70
	s_waitcnt vmcnt(11)
	v_mul_f16_sdwa v35, v84, v89 dst_sel:DWORD dst_unused:UNUSED_PAD src0_sel:DWORD src1_sel:WORD_1
	v_fma_f16 v85, v36, v89, -v35
	v_mul_f16_sdwa v86, v36, v89 dst_sel:DWORD dst_unused:UNUSED_PAD src0_sel:DWORD src1_sel:WORD_1
	ds_read2_b32 v[35:36], v64 offset0:92 offset1:217
	v_fma_f16 v84, v84, v89, v86
	v_pack_b32_f16 v70, v70, v71
	v_pack_b32_f16 v71, v85, v84
	ds_write2_b32 v67, v70, v71 offset0:110 offset1:235
	s_waitcnt lgkmcnt(1)
	v_lshrrev_b32_e32 v70, 16, v35
	s_waitcnt vmcnt(10)
	v_mul_f16_sdwa v71, v35, v90 dst_sel:DWORD dst_unused:UNUSED_PAD src0_sel:DWORD src1_sel:WORD_1
	v_fma_f16 v71, v70, v90, v71
	v_mul_f16_sdwa v70, v70, v90 dst_sel:DWORD dst_unused:UNUSED_PAD src0_sel:DWORD src1_sel:WORD_1
	v_lshrrev_b32_e32 v84, 16, v36
	v_fma_f16 v70, v35, v90, -v70
	s_waitcnt vmcnt(9)
	v_mul_f16_sdwa v35, v84, v91 dst_sel:DWORD dst_unused:UNUSED_PAD src0_sel:DWORD src1_sel:WORD_1
	v_fma_f16 v85, v36, v91, -v35
	v_mul_f16_sdwa v86, v36, v91 dst_sel:DWORD dst_unused:UNUSED_PAD src0_sel:DWORD src1_sel:WORD_1
	ds_read2_b32 v[35:36], v68 offset0:122 offset1:247
	v_fma_f16 v84, v84, v91, v86
	v_pack_b32_f16 v70, v70, v71
	v_pack_b32_f16 v71, v85, v84
	ds_write2_b32 v64, v70, v71 offset0:92 offset1:217
	;; [unrolled: 17-line block ×3, first 2 shown]
	s_waitcnt lgkmcnt(1)
	v_lshrrev_b32_e32 v70, 16, v35
	s_waitcnt vmcnt(5)
	v_mul_f16_sdwa v71, v35, v95 dst_sel:DWORD dst_unused:UNUSED_PAD src0_sel:DWORD src1_sel:WORD_1
	v_fma_f16 v71, v70, v95, v71
	v_mul_f16_sdwa v70, v70, v95 dst_sel:DWORD dst_unused:UNUSED_PAD src0_sel:DWORD src1_sel:WORD_1
	v_lshrrev_b32_e32 v84, 16, v36
	v_fma_f16 v70, v35, v95, -v70
	v_mul_f16_sdwa v35, v84, v92 dst_sel:DWORD dst_unused:UNUSED_PAD src0_sel:DWORD src1_sel:WORD_1
	v_fma_f16 v85, v36, v92, -v35
	v_mul_f16_sdwa v86, v36, v92 dst_sel:DWORD dst_unused:UNUSED_PAD src0_sel:DWORD src1_sel:WORD_1
	ds_read2_b32 v[35:36], v66 offset0:104 offset1:229
	v_fma_f16 v84, v84, v92, v86
	v_pack_b32_f16 v70, v70, v71
	v_pack_b32_f16 v71, v85, v84
	ds_write2_b32 v59, v70, v71 offset0:116 offset1:241
	s_waitcnt lgkmcnt(1)
	v_lshrrev_b32_e32 v70, 16, v36
	s_waitcnt vmcnt(4)
	v_mul_f16_sdwa v71, v36, v96 dst_sel:DWORD dst_unused:UNUSED_PAD src0_sel:DWORD src1_sel:WORD_1
	v_fma_f16 v71, v70, v96, v71
	v_mul_f16_sdwa v70, v70, v96 dst_sel:DWORD dst_unused:UNUSED_PAD src0_sel:DWORD src1_sel:WORD_1
	v_lshrrev_b32_e32 v84, 16, v35
	v_fma_f16 v70, v36, v96, -v70
	s_waitcnt vmcnt(2)
	v_mul_f16_sdwa v36, v84, v98 dst_sel:DWORD dst_unused:UNUSED_PAD src0_sel:DWORD src1_sel:WORD_1
	v_fma_f16 v85, v35, v98, -v36
	v_mul_f16_sdwa v86, v35, v98 dst_sel:DWORD dst_unused:UNUSED_PAD src0_sel:DWORD src1_sel:WORD_1
	ds_read2_b32 v[35:36], v57 offset0:98 offset1:223
	v_fma_f16 v84, v84, v98, v86
	v_pack_b32_f16 v70, v70, v71
	v_pack_b32_f16 v71, v85, v84
	ds_write2_b32 v66, v71, v70 offset0:104 offset1:229
	s_waitcnt lgkmcnt(1)
	v_lshrrev_b32_e32 v70, 16, v35
	v_mul_f16_sdwa v71, v35, v97 dst_sel:DWORD dst_unused:UNUSED_PAD src0_sel:DWORD src1_sel:WORD_1
	v_fma_f16 v71, v70, v97, v71
	v_mul_f16_sdwa v70, v70, v97 dst_sel:DWORD dst_unused:UNUSED_PAD src0_sel:DWORD src1_sel:WORD_1
	v_fma_f16 v35, v35, v97, -v70
	v_lshrrev_b32_e32 v70, 16, v36
	ds_read_b32 v85, v45 offset:7000
	s_waitcnt vmcnt(0)
	v_mul_f16_sdwa v84, v70, v100 dst_sel:DWORD dst_unused:UNUSED_PAD src0_sel:DWORD src1_sel:WORD_1
	v_fma_f16 v84, v36, v100, -v84
	v_mul_f16_sdwa v36, v36, v100 dst_sel:DWORD dst_unused:UNUSED_PAD src0_sel:DWORD src1_sel:WORD_1
	v_fma_f16 v36, v70, v100, v36
	v_pack_b32_f16 v35, v35, v71
	v_pack_b32_f16 v36, v84, v36
	ds_write2_b32 v57, v35, v36 offset0:98 offset1:223
	s_waitcnt lgkmcnt(1)
	v_lshrrev_b32_e32 v35, 16, v85
	v_mul_f16_sdwa v36, v35, v99 dst_sel:DWORD dst_unused:UNUSED_PAD src0_sel:DWORD src1_sel:WORD_1
	v_mul_f16_sdwa v70, v85, v99 dst_sel:DWORD dst_unused:UNUSED_PAD src0_sel:DWORD src1_sel:WORD_1
	v_fma_f16 v36, v85, v99, -v36
	v_fma_f16 v35, v35, v99, v70
	v_pack_b32_f16 v35, v36, v35
	ds_write_b32 v45, v35 offset:7000
	s_waitcnt lgkmcnt(0)
	s_barrier
	ds_read2_b32 v[35:36], v67 offset0:110 offset1:235
	ds_read2_b32 v[70:71], v68 offset0:122 offset1:247
	;; [unrolled: 1-line block ×4, first 2 shown]
	ds_read2_b32 v[88:89], v45 offset1:125
	s_waitcnt lgkmcnt(3)
	v_pk_add_f16 v90, v71, v35 neg_lo:[0,1] neg_hi:[0,1]
	s_waitcnt lgkmcnt(2)
	v_pk_add_f16 v95, v71, v84 neg_lo:[0,1] neg_hi:[0,1]
	;; [unrolled: 2-line block ×3, first 2 shown]
	v_pk_add_f16 v94, v90, v91
	v_pk_add_f16 v90, v35, v87
	s_waitcnt lgkmcnt(0)
	v_pk_fma_f16 v90, v90, 0.5, v88 op_sel_hi:[1,0,1] neg_lo:[1,0,0] neg_hi:[1,0,0]
	v_pk_mul_f16 v91, v95, s0 op_sel_hi:[1,0]
	v_pk_add_f16 v96, v35, v87 neg_lo:[0,1] neg_hi:[0,1]
	v_pk_add_f16 v92, v90, v91 op_sel:[0,1] op_sel_hi:[1,0] neg_lo:[0,1] neg_hi:[0,1]
	v_pk_add_f16 v90, v90, v91 op_sel:[0,1] op_sel_hi:[1,0]
	v_pk_mul_f16 v91, v96, s1 op_sel_hi:[1,0]
	v_pk_add_f16 v98, v90, v91 op_sel:[0,1] op_sel_hi:[1,0]
	v_pk_add_f16 v90, v88, v71
	v_pk_add_f16 v90, v90, v35
	;; [unrolled: 1-line block ×3, first 2 shown]
	v_pk_add_f16 v35, v35, v71 neg_lo:[0,1] neg_hi:[0,1]
	v_pk_add_f16 v71, v71, v84
	v_pk_add_f16 v99, v90, v84
	v_pk_add_f16 v87, v87, v84 neg_lo:[0,1] neg_hi:[0,1]
	v_pk_fma_f16 v71, v71, 0.5, v88 op_sel_hi:[1,0,1] neg_lo:[1,0,0] neg_hi:[1,0,0]
	v_pk_mul_f16 v84, v96, s0 op_sel_hi:[1,0]
	v_pk_add_f16 v97, v92, v91 op_sel:[0,1] op_sel_hi:[1,0] neg_lo:[0,1] neg_hi:[0,1]
	ds_read_b32 v100, v45 offset:7000
	ds_read2_b32 v[90:91], v59 offset0:116 offset1:241
	ds_read2_b32 v[92:93], v57 offset0:98 offset1:223
	v_pk_add_f16 v35, v35, v87
	v_pk_add_f16 v87, v71, v84 op_sel:[0,1] op_sel_hi:[1,0]
	v_pk_add_f16 v71, v71, v84 op_sel:[0,1] op_sel_hi:[1,0] neg_lo:[0,1] neg_hi:[0,1]
	v_pk_mul_f16 v84, v95, s1 op_sel_hi:[1,0]
	v_pk_add_f16 v87, v87, v84 op_sel:[0,1] op_sel_hi:[1,0] neg_lo:[0,1] neg_hi:[0,1]
	v_pk_add_f16 v71, v71, v84 op_sel:[0,1] op_sel_hi:[1,0]
	v_bfi_b32 v84, s14, v87, v71
	v_bfi_b32 v71, s14, v71, v87
	v_pk_fma_f16 v84, v35, s6, v84 op_sel_hi:[1,0,1]
	v_pk_fma_f16 v35, v35, s6, v71 op_sel_hi:[1,0,1]
	s_waitcnt lgkmcnt(0)
	s_barrier
	ds_write2_b32 v69, v84, v35 offset0:2 offset1:3
	v_bfi_b32 v35, s14, v98, v97
	v_bfi_b32 v101, s14, v97, v98
	v_pk_fma_f16 v35, v94, s6, v35 op_sel_hi:[1,0,1]
	v_pk_add_f16 v84, v90, v36 neg_lo:[0,1] neg_hi:[0,1]
	v_pk_add_f16 v87, v85, v92 neg_lo:[0,1] neg_hi:[0,1]
	v_pk_fma_f16 v101, v94, s6, v101 op_sel_hi:[1,0,1]
	ds_write_b32 v69, v35 offset:16
	v_pk_add_f16 v35, v36, v92
	v_pk_add_f16 v84, v84, v87
	v_pk_add_f16 v87, v90, v85 neg_lo:[0,1] neg_hi:[0,1]
	ds_write2_b32 v69, v99, v101 offset1:1
	v_pk_fma_f16 v35, v35, 0.5, v89 op_sel_hi:[1,0,1] neg_lo:[1,0,0] neg_hi:[1,0,0]
	v_pk_add_f16 v69, v90, v85
	v_pk_mul_f16 v88, v87, s0 op_sel_hi:[1,0]
	v_pk_fma_f16 v69, v69, 0.5, v89 op_sel_hi:[1,0,1] neg_lo:[1,0,0] neg_hi:[1,0,0]
	v_pk_add_f16 v71, v89, v90
	v_pk_add_f16 v89, v35, v88 op_sel:[0,1] op_sel_hi:[1,0] neg_lo:[0,1] neg_hi:[0,1]
	v_pk_add_f16 v35, v35, v88 op_sel:[0,1] op_sel_hi:[1,0]
	v_pk_add_f16 v88, v36, v92 neg_lo:[0,1] neg_hi:[0,1]
	v_pk_mul_f16 v94, v88, s1 op_sel_hi:[1,0]
	v_pk_add_f16 v89, v89, v94 op_sel:[0,1] op_sel_hi:[1,0] neg_lo:[0,1] neg_hi:[0,1]
	v_pk_add_f16 v35, v35, v94 op_sel:[0,1] op_sel_hi:[1,0]
	v_pk_add_f16 v71, v71, v36
	v_pk_add_f16 v71, v71, v92
	v_bfi_b32 v94, s14, v89, v35
	v_pk_add_f16 v71, v71, v85
	v_pk_fma_f16 v94, v84, s6, v94 op_sel_hi:[1,0,1]
	ds_write2_b32 v73, v71, v94 offset1:1
	v_pk_add_f16 v36, v36, v90 neg_lo:[0,1] neg_hi:[0,1]
	v_pk_add_f16 v71, v92, v85 neg_lo:[0,1] neg_hi:[0,1]
	v_pk_add_f16 v36, v36, v71
	v_pk_mul_f16 v71, v88, s0 op_sel_hi:[1,0]
	v_pk_add_f16 v85, v69, v71 op_sel:[0,1] op_sel_hi:[1,0]
	v_pk_add_f16 v69, v69, v71 op_sel:[0,1] op_sel_hi:[1,0] neg_lo:[0,1] neg_hi:[0,1]
	v_pk_mul_f16 v71, v87, s1 op_sel_hi:[1,0]
	v_pk_add_f16 v85, v85, v71 op_sel:[0,1] op_sel_hi:[1,0] neg_lo:[0,1] neg_hi:[0,1]
	v_pk_add_f16 v69, v69, v71 op_sel:[0,1] op_sel_hi:[1,0]
	v_bfi_b32 v71, s14, v85, v69
	v_bfi_b32 v69, s14, v69, v85
	;; [unrolled: 1-line block ×3, first 2 shown]
	v_pk_fma_f16 v71, v36, s6, v71 op_sel_hi:[1,0,1]
	v_pk_fma_f16 v36, v36, s6, v69 op_sel_hi:[1,0,1]
	;; [unrolled: 1-line block ×3, first 2 shown]
	ds_write2_b32 v73, v71, v36 offset0:2 offset1:3
	ds_write_b32 v73, v35 offset:16
	v_pk_add_f16 v35, v91, v86 neg_lo:[0,1] neg_hi:[0,1]
	v_pk_add_f16 v36, v100, v93 neg_lo:[0,1] neg_hi:[0,1]
	v_pk_add_f16 v35, v35, v36
	v_pk_add_f16 v36, v86, v93
	v_pk_add_f16 v69, v91, v100 neg_lo:[0,1] neg_hi:[0,1]
	v_pk_fma_f16 v36, v36, 0.5, v70 op_sel_hi:[1,0,1] neg_lo:[1,0,0] neg_hi:[1,0,0]
	v_pk_mul_f16 v71, v69, s0 op_sel_hi:[1,0]
	v_pk_add_f16 v73, v36, v71 op_sel:[0,1] op_sel_hi:[1,0] neg_lo:[0,1] neg_hi:[0,1]
	v_pk_add_f16 v36, v36, v71 op_sel:[0,1] op_sel_hi:[1,0]
	v_pk_add_f16 v71, v86, v93 neg_lo:[0,1] neg_hi:[0,1]
	v_pk_mul_f16 v84, v71, s1 op_sel_hi:[1,0]
	v_pk_add_f16 v73, v73, v84 op_sel:[0,1] op_sel_hi:[1,0] neg_lo:[0,1] neg_hi:[0,1]
	v_pk_add_f16 v36, v36, v84 op_sel:[0,1] op_sel_hi:[1,0]
	v_pk_add_f16 v84, v70, v91
	v_pk_add_f16 v84, v84, v86
	;; [unrolled: 1-line block ×3, first 2 shown]
	v_bfi_b32 v85, s14, v73, v36
	v_pk_add_f16 v84, v84, v100
	v_pk_fma_f16 v85, v35, s6, v85 op_sel_hi:[1,0,1]
	ds_write2_b32 v72, v84, v85 offset1:1
	v_pk_add_f16 v85, v91, v100
	v_pk_add_f16 v84, v86, v91 neg_lo:[0,1] neg_hi:[0,1]
	v_pk_fma_f16 v70, v85, 0.5, v70 op_sel_hi:[1,0,1] neg_lo:[1,0,0] neg_hi:[1,0,0]
	v_pk_add_f16 v85, v93, v100 neg_lo:[0,1] neg_hi:[0,1]
	v_pk_mul_f16 v71, v71, s0 op_sel_hi:[1,0]
	v_pk_add_f16 v84, v84, v85
	v_pk_add_f16 v85, v70, v71 op_sel:[0,1] op_sel_hi:[1,0]
	v_pk_add_f16 v70, v70, v71 op_sel:[0,1] op_sel_hi:[1,0] neg_lo:[0,1] neg_hi:[0,1]
	v_pk_mul_f16 v69, v69, s1 op_sel_hi:[1,0]
	v_pk_add_f16 v71, v85, v69 op_sel:[0,1] op_sel_hi:[1,0] neg_lo:[0,1] neg_hi:[0,1]
	v_pk_add_f16 v69, v70, v69 op_sel:[0,1] op_sel_hi:[1,0]
	v_bfi_b32 v70, s14, v71, v69
	v_bfi_b32 v69, s14, v69, v71
	;; [unrolled: 1-line block ×3, first 2 shown]
	v_pk_fma_f16 v70, v84, s6, v70 op_sel_hi:[1,0,1]
	v_pk_fma_f16 v69, v84, s6, v69 op_sel_hi:[1,0,1]
	;; [unrolled: 1-line block ×3, first 2 shown]
	ds_write2_b32 v72, v70, v69 offset0:2 offset1:3
	ds_write_b32 v72, v35 offset:16
	s_waitcnt lgkmcnt(0)
	s_barrier
	ds_read2_b32 v[35:36], v59 offset0:116 offset1:241
	ds_read2_b32 v[69:70], v67 offset0:110 offset1:235
	s_waitcnt lgkmcnt(1)
	v_lshrrev_b32_e32 v71, 16, v35
	v_mul_f16_sdwa v72, v4, v35 dst_sel:DWORD dst_unused:UNUSED_PAD src0_sel:WORD_1 src1_sel:DWORD
	v_fma_f16 v73, v4, v71, -v72
	v_mul_f16_sdwa v71, v4, v71 dst_sel:DWORD dst_unused:UNUSED_PAD src0_sel:WORD_1 src1_sel:DWORD
	v_fma_f16 v35, v4, v35, v71
	s_waitcnt lgkmcnt(0)
	v_lshrrev_b32_e32 v4, 16, v70
	ds_read2_b32 v[71:72], v57 offset0:98 offset1:223
	v_mul_f16_sdwa v84, v5, v70 dst_sel:DWORD dst_unused:UNUSED_PAD src0_sel:WORD_1 src1_sel:DWORD
	v_fma_f16 v84, v5, v4, -v84
	v_mul_f16_sdwa v4, v5, v4 dst_sel:DWORD dst_unused:UNUSED_PAD src0_sel:WORD_1 src1_sel:DWORD
	v_fma_f16 v70, v5, v70, v4
	ds_read2_b32 v[4:5], v64 offset0:92 offset1:217
	s_waitcnt lgkmcnt(1)
	v_lshrrev_b32_e32 v85, 16, v71
	v_mul_f16_sdwa v86, v6, v71 dst_sel:DWORD dst_unused:UNUSED_PAD src0_sel:WORD_1 src1_sel:DWORD
	v_fma_f16 v86, v6, v85, -v86
	v_mul_f16_sdwa v85, v6, v85 dst_sel:DWORD dst_unused:UNUSED_PAD src0_sel:WORD_1 src1_sel:DWORD
	v_fma_f16 v71, v6, v71, v85
	s_waitcnt lgkmcnt(0)
	v_lshrrev_b32_e32 v6, 16, v5
	v_mul_f16_sdwa v85, v7, v5 dst_sel:DWORD dst_unused:UNUSED_PAD src0_sel:WORD_1 src1_sel:DWORD
	v_fma_f16 v85, v7, v6, -v85
	v_mul_f16_sdwa v6, v7, v6 dst_sel:DWORD dst_unused:UNUSED_PAD src0_sel:WORD_1 src1_sel:DWORD
	v_fma_f16 v7, v7, v5, v6
	v_lshrrev_b32_e32 v5, 16, v36
	v_mul_f16_sdwa v6, v24, v5 dst_sel:DWORD dst_unused:UNUSED_PAD src0_sel:WORD_1 src1_sel:DWORD
	v_fma_f16 v87, v24, v36, v6
	v_mul_f16_sdwa v6, v24, v36 dst_sel:DWORD dst_unused:UNUSED_PAD src0_sel:WORD_1 src1_sel:DWORD
	v_fma_f16 v24, v24, v5, -v6
	v_lshrrev_b32_e32 v5, 16, v72
	ds_read_b32 v36, v45 offset:7000
	v_mul_f16_sdwa v6, v26, v5 dst_sel:DWORD dst_unused:UNUSED_PAD src0_sel:WORD_1 src1_sel:DWORD
	v_fma_f16 v88, v26, v72, v6
	v_mul_f16_sdwa v6, v26, v72 dst_sel:DWORD dst_unused:UNUSED_PAD src0_sel:WORD_1 src1_sel:DWORD
	v_fma_f16 v26, v26, v5, -v6
	ds_read2_b32 v[5:6], v66 offset0:104 offset1:229
	s_waitcnt lgkmcnt(1)
	v_lshrrev_b32_e32 v72, 16, v36
	v_mul_f16_sdwa v89, v27, v72 dst_sel:DWORD dst_unused:UNUSED_PAD src0_sel:WORD_1 src1_sel:DWORD
	v_fma_f16 v89, v27, v36, v89
	v_mul_f16_sdwa v36, v27, v36 dst_sel:DWORD dst_unused:UNUSED_PAD src0_sel:WORD_1 src1_sel:DWORD
	v_fma_f16 v27, v27, v72, -v36
	s_waitcnt lgkmcnt(0)
	v_lshrrev_b32_e32 v36, 16, v5
	v_mul_f16_sdwa v72, v25, v5 dst_sel:DWORD dst_unused:UNUSED_PAD src0_sel:WORD_1 src1_sel:DWORD
	v_fma_f16 v72, v25, v36, -v72
	v_mul_f16_sdwa v36, v25, v36 dst_sel:DWORD dst_unused:UNUSED_PAD src0_sel:WORD_1 src1_sel:DWORD
	v_fma_f16 v5, v25, v5, v36
	v_lshrrev_b32_e32 v25, 16, v69
	v_mul_f16_sdwa v36, v1, v25 dst_sel:DWORD dst_unused:UNUSED_PAD src0_sel:WORD_1 src1_sel:DWORD
	v_fma_f16 v36, v1, v69, v36
	v_mul_f16_sdwa v69, v1, v69 dst_sel:DWORD dst_unused:UNUSED_PAD src0_sel:WORD_1 src1_sel:DWORD
	v_fma_f16 v25, v1, v25, -v69
	v_lshrrev_b32_e32 v1, 16, v6
	v_mul_f16_sdwa v69, v2, v1 dst_sel:DWORD dst_unused:UNUSED_PAD src0_sel:WORD_1 src1_sel:DWORD
	v_fma_f16 v69, v2, v6, v69
	v_mul_f16_sdwa v6, v2, v6 dst_sel:DWORD dst_unused:UNUSED_PAD src0_sel:WORD_1 src1_sel:DWORD
	v_fma_f16 v6, v2, v1, -v6
	ds_read2_b32 v[1:2], v68 offset0:122 offset1:247
	v_lshrrev_b32_e32 v90, 16, v4
	v_mul_f16_sdwa v91, v3, v90 dst_sel:DWORD dst_unused:UNUSED_PAD src0_sel:WORD_1 src1_sel:DWORD
	v_fma_f16 v91, v3, v4, v91
	v_mul_f16_sdwa v4, v3, v4 dst_sel:DWORD dst_unused:UNUSED_PAD src0_sel:WORD_1 src1_sel:DWORD
	v_fma_f16 v4, v3, v90, -v4
	s_waitcnt lgkmcnt(0)
	v_lshrrev_b32_e32 v3, 16, v2
	v_mul_f16_sdwa v90, v0, v2 dst_sel:DWORD dst_unused:UNUSED_PAD src0_sel:WORD_1 src1_sel:DWORD
	v_fma_f16 v90, v0, v3, -v90
	v_mul_f16_sdwa v3, v0, v3 dst_sel:DWORD dst_unused:UNUSED_PAD src0_sel:WORD_1 src1_sel:DWORD
	v_fma_f16 v0, v0, v2, v3
	ds_read2_b32 v[2:3], v45 offset1:125
	v_sub_f16_e32 v92, v0, v36
	v_sub_f16_e32 v93, v91, v69
	v_add_f16_e32 v92, v92, v93
	v_sub_f16_e32 v93, v90, v25
	v_sub_f16_e32 v94, v4, v6
	s_waitcnt lgkmcnt(0)
	v_lshrrev_b32_e32 v95, 16, v2
	v_add_f16_e32 v93, v93, v94
	v_add_f16_e32 v94, v2, v0
	;; [unrolled: 1-line block ×9, first 2 shown]
	v_pack_b32_f16 v94, v94, v96
	v_add_f16_e32 v96, v36, v69
	v_sub_f16_e32 v101, v0, v91
	v_sub_f16_e32 v103, v36, v69
	;; [unrolled: 1-line block ×3, first 2 shown]
	v_add_f16_e32 v0, v0, v91
	v_sub_f16_e32 v99, v25, v6
	v_fma_f16 v0, v0, -0.5, v2
	v_fma_f16 v96, v96, -0.5, v2
	v_sub_f16_e32 v97, v90, v4
	v_sub_f16_e32 v69, v69, v91
	v_fma_f16 v2, v99, s0, v0
	v_fma_f16 v0, v99, s12, v0
	v_add_f16_e32 v36, v36, v69
	v_fma_f16 v2, v97, s7, v2
	v_fma_f16 v0, v97, s1, v0
	;; [unrolled: 1-line block ×4, first 2 shown]
	v_add_f16_e32 v36, v90, v4
	v_add_f16_e32 v100, v25, v6
	v_fma_f16 v36, v36, -0.5, v95
	v_sub_f16_e32 v25, v25, v90
	v_sub_f16_e32 v4, v6, v4
	v_add_f16_e32 v4, v25, v4
	v_fma_f16 v6, v103, s12, v36
	v_fma_f16 v25, v103, s0, v36
	v_fma_f16 v6, v101, s1, v6
	v_fma_f16 v25, v101, s7, v25
	v_fma_f16 v6, v4, s6, v6
	v_fma_f16 v4, v4, s6, v25
	v_fma_f16 v100, v100, -0.5, v95
	v_pack_b32_f16 v2, v2, v6
	v_pack_b32_f16 v0, v0, v4
	s_barrier
	ds_write2_b32 v74, v2, v0 offset0:10 offset1:15
	v_fma_f16 v0, v97, s0, v96
	v_fma_f16 v2, v101, s12, v100
	;; [unrolled: 1-line block ×6, first 2 shown]
	v_pack_b32_f16 v0, v0, v2
	v_sub_f16_e32 v6, v35, v70
	v_sub_f16_e32 v25, v7, v71
	ds_write_b32 v74, v0 offset:80
	v_add_f16_e32 v0, v70, v71
	v_add_f16_e32 v2, v35, v7
	v_lshrrev_b32_e32 v4, 16, v3
	v_add_f16_e32 v6, v6, v25
	v_sub_f16_e32 v25, v73, v84
	v_sub_f16_e32 v36, v85, v86
	v_fma_f16 v0, v0, -0.5, v3
	v_fma_f16 v2, v2, -0.5, v3
	v_add_f16_e32 v3, v3, v35
	v_add_f16_e32 v25, v25, v36
	;; [unrolled: 1-line block ×3, first 2 shown]
	v_fma_f16 v98, v97, s12, v96
	v_fma_f16 v102, v101, s0, v100
	v_add_f16_e32 v3, v3, v70
	v_add_f16_e32 v36, v36, v84
	v_fma_f16 v98, v99, s7, v98
	v_fma_f16 v102, v103, s1, v102
	v_add_f16_e32 v3, v3, v71
	v_add_f16_e32 v36, v36, v86
	;; [unrolled: 4-line block ×3, first 2 shown]
	v_add_f16_e32 v90, v84, v86
	v_pack_b32_f16 v98, v98, v102
	v_pack_b32_f16 v3, v3, v36
	v_sub_f16_e32 v36, v73, v85
	v_fma_f16 v90, v90, -0.5, v4
	v_sub_f16_e32 v91, v35, v7
	ds_write2_b32 v74, v94, v98 offset1:5
	v_fma_f16 v69, v36, s12, v0
	v_sub_f16_e32 v74, v84, v86
	v_fma_f16 v92, v91, s0, v90
	v_sub_f16_e32 v93, v70, v71
	v_fma_f16 v69, v74, s7, v69
	v_fma_f16 v92, v93, s1, v92
	;; [unrolled: 1-line block ×4, first 2 shown]
	v_pack_b32_f16 v69, v69, v92
	ds_write2_b32 v75, v3, v69 offset1:5
	v_sub_f16_e32 v3, v70, v35
	v_sub_f16_e32 v7, v71, v7
	v_add_f16_e32 v3, v3, v7
	v_fma_f16 v7, v74, s0, v2
	v_fma_f16 v2, v74, s12, v2
	;; [unrolled: 1-line block ×6, first 2 shown]
	v_add_f16_e32 v3, v73, v85
	v_fma_f16 v3, v3, -0.5, v4
	v_sub_f16_e32 v4, v84, v73
	v_sub_f16_e32 v35, v86, v85
	v_add_f16_e32 v4, v4, v35
	v_fma_f16 v35, v93, s12, v3
	v_fma_f16 v3, v93, s0, v3
	;; [unrolled: 1-line block ×6, first 2 shown]
	v_pack_b32_f16 v4, v7, v35
	v_pack_b32_f16 v2, v2, v3
	ds_write2_b32 v75, v4, v2 offset0:10 offset1:15
	v_fma_f16 v0, v36, s0, v0
	v_fma_f16 v2, v91, s12, v90
	;; [unrolled: 1-line block ×6, first 2 shown]
	v_pack_b32_f16 v0, v0, v2
	v_sub_f16_e32 v4, v87, v5
	v_sub_f16_e32 v6, v89, v88
	ds_write_b32 v75, v0 offset:80
	v_add_f16_e32 v0, v5, v88
	v_add_f16_e32 v2, v87, v89
	v_lshrrev_b32_e32 v3, 16, v1
	v_add_f16_e32 v4, v4, v6
	v_sub_f16_e32 v6, v24, v72
	v_sub_f16_e32 v7, v27, v26
	v_fma_f16 v0, v0, -0.5, v1
	v_fma_f16 v2, v2, -0.5, v1
	v_add_f16_e32 v1, v1, v87
	v_add_f16_e32 v6, v6, v7
	v_add_f16_e32 v7, v3, v24
	v_add_f16_e32 v1, v1, v5
	v_add_f16_e32 v7, v7, v72
	v_add_f16_e32 v1, v1, v88
	v_add_f16_e32 v7, v7, v26
	v_add_f16_e32 v1, v1, v89
	v_add_f16_e32 v7, v7, v27
	v_add_f16_e32 v36, v72, v26
	v_pack_b32_f16 v1, v1, v7
	v_sub_f16_e32 v7, v24, v27
	v_fma_f16 v36, v36, -0.5, v3
	v_sub_f16_e32 v69, v87, v89
	v_fma_f16 v25, v7, s12, v0
	v_sub_f16_e32 v35, v72, v26
	v_fma_f16 v70, v69, s0, v36
	;; [unrolled: 2-line block ×3, first 2 shown]
	v_fma_f16 v70, v71, s1, v70
	v_fma_f16 v25, v4, s6, v25
	;; [unrolled: 1-line block ×3, first 2 shown]
	v_pack_b32_f16 v25, v25, v70
	ds_write2_b32 v76, v1, v25 offset1:5
	v_sub_f16_e32 v1, v5, v87
	v_sub_f16_e32 v5, v88, v89
	v_add_f16_e32 v1, v1, v5
	v_fma_f16 v5, v35, s0, v2
	v_fma_f16 v2, v35, s12, v2
	;; [unrolled: 1-line block ×6, first 2 shown]
	v_add_f16_e32 v2, v24, v27
	v_fma_f16 v2, v2, -0.5, v3
	v_sub_f16_e32 v3, v72, v24
	v_sub_f16_e32 v24, v26, v27
	v_add_f16_e32 v3, v3, v24
	v_fma_f16 v24, v71, s12, v2
	v_fma_f16 v2, v71, s0, v2
	;; [unrolled: 1-line block ×6, first 2 shown]
	v_pack_b32_f16 v3, v5, v24
	v_pack_b32_f16 v1, v1, v2
	ds_write2_b32 v76, v3, v1 offset0:10 offset1:15
	v_fma_f16 v0, v7, s0, v0
	v_fma_f16 v1, v69, s12, v36
	;; [unrolled: 1-line block ×6, first 2 shown]
	v_pack_b32_f16 v0, v0, v1
	ds_write_b32 v76, v0 offset:80
	s_waitcnt lgkmcnt(0)
	s_barrier
	ds_read2_b32 v[0:1], v59 offset0:116 offset1:241
	ds_read2_b32 v[2:3], v67 offset0:110 offset1:235
	ds_read_b32 v27, v45 offset:7000
	s_waitcnt lgkmcnt(2)
	v_lshrrev_b32_e32 v4, 16, v0
	v_mul_f16_sdwa v5, v12, v0 dst_sel:DWORD dst_unused:UNUSED_PAD src0_sel:WORD_1 src1_sel:DWORD
	v_fma_f16 v24, v12, v4, -v5
	v_mul_f16_sdwa v4, v12, v4 dst_sel:DWORD dst_unused:UNUSED_PAD src0_sel:WORD_1 src1_sel:DWORD
	v_fma_f16 v12, v12, v0, v4
	ds_read2_b32 v[4:5], v57 offset0:98 offset1:223
	s_waitcnt lgkmcnt(2)
	v_lshrrev_b32_e32 v0, 16, v3
	v_mul_f16_sdwa v6, v13, v3 dst_sel:DWORD dst_unused:UNUSED_PAD src0_sel:WORD_1 src1_sel:DWORD
	v_fma_f16 v25, v13, v0, -v6
	ds_read2_b32 v[6:7], v64 offset0:92 offset1:217
	v_mul_f16_sdwa v0, v13, v0 dst_sel:DWORD dst_unused:UNUSED_PAD src0_sel:WORD_1 src1_sel:DWORD
	v_fma_f16 v3, v13, v3, v0
	s_waitcnt lgkmcnt(1)
	v_lshrrev_b32_e32 v0, 16, v4
	v_mul_f16_sdwa v13, v14, v4 dst_sel:DWORD dst_unused:UNUSED_PAD src0_sel:WORD_1 src1_sel:DWORD
	v_fma_f16 v13, v14, v0, -v13
	v_mul_f16_sdwa v0, v14, v0 dst_sel:DWORD dst_unused:UNUSED_PAD src0_sel:WORD_1 src1_sel:DWORD
	v_fma_f16 v4, v14, v4, v0
	s_waitcnt lgkmcnt(0)
	v_lshrrev_b32_e32 v0, 16, v7
	v_mul_f16_sdwa v14, v15, v7 dst_sel:DWORD dst_unused:UNUSED_PAD src0_sel:WORD_1 src1_sel:DWORD
	v_fma_f16 v14, v15, v0, -v14
	v_mul_f16_sdwa v0, v15, v0 dst_sel:DWORD dst_unused:UNUSED_PAD src0_sel:WORD_1 src1_sel:DWORD
	v_fma_f16 v7, v15, v7, v0
	v_lshrrev_b32_e32 v0, 16, v1
	v_mul_f16_sdwa v15, v28, v0 dst_sel:DWORD dst_unused:UNUSED_PAD src0_sel:WORD_1 src1_sel:DWORD
	v_fma_f16 v15, v28, v1, v15
	v_mul_f16_sdwa v1, v28, v1 dst_sel:DWORD dst_unused:UNUSED_PAD src0_sel:WORD_1 src1_sel:DWORD
	v_fma_f16 v26, v28, v0, -v1
	v_lshrrev_b32_e32 v0, 16, v5
	v_mul_f16_sdwa v1, v30, v0 dst_sel:DWORD dst_unused:UNUSED_PAD src0_sel:WORD_1 src1_sel:DWORD
	v_fma_f16 v28, v30, v5, v1
	v_mul_f16_sdwa v1, v30, v5 dst_sel:DWORD dst_unused:UNUSED_PAD src0_sel:WORD_1 src1_sel:DWORD
	v_fma_f16 v5, v30, v0, -v1
	ds_read2_b32 v[0:1], v66 offset0:104 offset1:229
	v_lshrrev_b32_e32 v30, 16, v27
	v_mul_f16_sdwa v35, v31, v30 dst_sel:DWORD dst_unused:UNUSED_PAD src0_sel:WORD_1 src1_sel:DWORD
	v_fma_f16 v35, v31, v27, v35
	v_mul_f16_sdwa v27, v31, v27 dst_sel:DWORD dst_unused:UNUSED_PAD src0_sel:WORD_1 src1_sel:DWORD
	v_fma_f16 v27, v31, v30, -v27
	s_waitcnt lgkmcnt(0)
	v_lshrrev_b32_e32 v30, 16, v0
	v_mul_f16_sdwa v31, v29, v0 dst_sel:DWORD dst_unused:UNUSED_PAD src0_sel:WORD_1 src1_sel:DWORD
	v_fma_f16 v31, v29, v30, -v31
	v_mul_f16_sdwa v30, v29, v30 dst_sel:DWORD dst_unused:UNUSED_PAD src0_sel:WORD_1 src1_sel:DWORD
	v_fma_f16 v29, v29, v0, v30
	v_lshrrev_b32_e32 v0, 16, v2
	v_mul_f16_sdwa v30, v9, v0 dst_sel:DWORD dst_unused:UNUSED_PAD src0_sel:WORD_1 src1_sel:DWORD
	v_fma_f16 v30, v9, v2, v30
	v_mul_f16_sdwa v2, v9, v2 dst_sel:DWORD dst_unused:UNUSED_PAD src0_sel:WORD_1 src1_sel:DWORD
	v_fma_f16 v9, v9, v0, -v2
	v_lshrrev_b32_e32 v0, 16, v1
	v_mul_f16_sdwa v2, v10, v0 dst_sel:DWORD dst_unused:UNUSED_PAD src0_sel:WORD_1 src1_sel:DWORD
	v_fma_f16 v36, v10, v1, v2
	v_mul_f16_sdwa v1, v10, v1 dst_sel:DWORD dst_unused:UNUSED_PAD src0_sel:WORD_1 src1_sel:DWORD
	v_fma_f16 v10, v10, v0, -v1
	ds_read2_b32 v[0:1], v68 offset0:122 offset1:247
	v_lshrrev_b32_e32 v2, 16, v6
	v_mul_f16_sdwa v69, v11, v2 dst_sel:DWORD dst_unused:UNUSED_PAD src0_sel:WORD_1 src1_sel:DWORD
	v_fma_f16 v69, v11, v6, v69
	v_mul_f16_sdwa v6, v11, v6 dst_sel:DWORD dst_unused:UNUSED_PAD src0_sel:WORD_1 src1_sel:DWORD
	v_fma_f16 v6, v11, v2, -v6
	s_waitcnt lgkmcnt(0)
	v_lshrrev_b32_e32 v2, 16, v1
	v_mul_f16_sdwa v11, v8, v1 dst_sel:DWORD dst_unused:UNUSED_PAD src0_sel:WORD_1 src1_sel:DWORD
	v_fma_f16 v11, v8, v2, -v11
	v_mul_f16_sdwa v2, v8, v2 dst_sel:DWORD dst_unused:UNUSED_PAD src0_sel:WORD_1 src1_sel:DWORD
	v_fma_f16 v8, v8, v1, v2
	ds_read2_b32 v[1:2], v45 offset1:125
	v_sub_f16_e32 v70, v8, v30
	v_sub_f16_e32 v71, v69, v36
	v_add_f16_e32 v70, v70, v71
	v_sub_f16_e32 v71, v11, v9
	v_sub_f16_e32 v72, v6, v10
	s_waitcnt lgkmcnt(0)
	v_lshrrev_b32_e32 v73, 16, v1
	v_add_f16_e32 v71, v71, v72
	v_add_f16_e32 v72, v1, v8
	v_add_f16_e32 v74, v73, v11
	v_add_f16_e32 v72, v72, v30
	v_add_f16_e32 v74, v74, v9
	v_add_f16_e32 v72, v72, v36
	v_add_f16_e32 v74, v74, v10
	v_add_f16_e32 v72, v72, v69
	v_add_f16_e32 v74, v74, v6
	v_pack_b32_f16 v72, v72, v74
	v_add_f16_e32 v74, v30, v36
	v_sub_f16_e32 v86, v8, v69
	v_sub_f16_e32 v88, v30, v36
	;; [unrolled: 1-line block ×3, first 2 shown]
	v_add_f16_e32 v8, v8, v69
	v_fma_f16 v74, v74, -0.5, v1
	v_sub_f16_e32 v84, v9, v10
	v_fma_f16 v1, v8, -0.5, v1
	v_sub_f16_e32 v75, v11, v6
	v_sub_f16_e32 v36, v36, v69
	v_fma_f16 v8, v84, s0, v1
	v_fma_f16 v1, v84, s12, v1
	v_add_f16_e32 v30, v30, v36
	v_fma_f16 v8, v75, s7, v8
	v_fma_f16 v1, v75, s1, v1
	;; [unrolled: 1-line block ×4, first 2 shown]
	v_add_f16_e32 v30, v11, v6
	v_add_f16_e32 v85, v9, v10
	v_fma_f16 v30, v30, -0.5, v73
	v_sub_f16_e32 v9, v9, v11
	v_sub_f16_e32 v6, v10, v6
	v_add_f16_e32 v6, v9, v6
	v_fma_f16 v9, v88, s12, v30
	v_fma_f16 v10, v88, s0, v30
	;; [unrolled: 1-line block ×6, first 2 shown]
	v_fma_f16 v85, v85, -0.5, v73
	v_pack_b32_f16 v8, v8, v9
	v_pack_b32_f16 v1, v1, v6
	s_barrier
	ds_write2_b32 v77, v8, v1 offset0:50 offset1:75
	v_fma_f16 v1, v75, s0, v74
	v_fma_f16 v6, v86, s12, v85
	;; [unrolled: 1-line block ×6, first 2 shown]
	v_pack_b32_f16 v1, v1, v6
	v_sub_f16_e32 v9, v12, v3
	v_sub_f16_e32 v10, v7, v4
	ds_write_b32 v77, v1 offset:400
	v_add_f16_e32 v1, v3, v4
	v_add_f16_e32 v6, v12, v7
	v_lshrrev_b32_e32 v8, 16, v2
	v_add_f16_e32 v9, v9, v10
	v_sub_f16_e32 v10, v24, v25
	v_sub_f16_e32 v11, v14, v13
	v_fma_f16 v1, v1, -0.5, v2
	v_fma_f16 v6, v6, -0.5, v2
	v_add_f16_e32 v2, v2, v12
	v_add_f16_e32 v10, v10, v11
	;; [unrolled: 1-line block ×3, first 2 shown]
	v_fma_f16 v76, v75, s12, v74
	v_fma_f16 v87, v86, s0, v85
	v_add_f16_e32 v2, v2, v3
	v_add_f16_e32 v11, v11, v25
	v_fma_f16 v76, v84, s7, v76
	v_fma_f16 v87, v88, s1, v87
	v_add_f16_e32 v2, v2, v4
	v_add_f16_e32 v11, v11, v13
	;; [unrolled: 4-line block ×3, first 2 shown]
	v_add_f16_e32 v69, v25, v13
	v_pack_b32_f16 v76, v76, v87
	v_pack_b32_f16 v2, v2, v11
	v_sub_f16_e32 v11, v24, v14
	v_fma_f16 v69, v69, -0.5, v8
	v_sub_f16_e32 v70, v12, v7
	ds_write2_b32 v77, v72, v76 offset1:25
	v_fma_f16 v30, v11, s12, v1
	v_sub_f16_e32 v36, v25, v13
	v_fma_f16 v71, v70, s0, v69
	v_sub_f16_e32 v72, v3, v4
	v_fma_f16 v30, v36, s7, v30
	v_fma_f16 v71, v72, s1, v71
	;; [unrolled: 1-line block ×4, first 2 shown]
	v_pack_b32_f16 v30, v30, v71
	ds_write2_b32 v78, v2, v30 offset1:25
	v_sub_f16_e32 v2, v3, v12
	v_sub_f16_e32 v3, v4, v7
	v_add_f16_e32 v2, v2, v3
	v_fma_f16 v3, v36, s0, v6
	v_fma_f16 v4, v36, s12, v6
	;; [unrolled: 1-line block ×6, first 2 shown]
	v_add_f16_e32 v4, v24, v14
	v_fma_f16 v4, v4, -0.5, v8
	v_sub_f16_e32 v6, v25, v24
	v_sub_f16_e32 v7, v13, v14
	v_add_f16_e32 v6, v6, v7
	v_fma_f16 v7, v72, s12, v4
	v_fma_f16 v4, v72, s0, v4
	;; [unrolled: 1-line block ×6, first 2 shown]
	v_pack_b32_f16 v3, v3, v7
	v_pack_b32_f16 v2, v2, v4
	ds_write2_b32 v78, v3, v2 offset0:50 offset1:75
	v_fma_f16 v1, v11, s0, v1
	v_fma_f16 v2, v70, s12, v69
	;; [unrolled: 1-line block ×6, first 2 shown]
	v_pack_b32_f16 v1, v1, v2
	ds_write_b32 v78, v1 offset:400
	v_add_f16_e32 v1, v29, v28
	v_sub_f16_e32 v4, v15, v29
	v_sub_f16_e32 v6, v35, v28
	v_fma_f16 v1, v1, -0.5, v0
	v_add_f16_e32 v4, v4, v6
	v_sub_f16_e32 v6, v26, v27
	v_fma_f16 v7, v6, s12, v1
	v_sub_f16_e32 v8, v31, v5
	v_fma_f16 v1, v6, s0, v1
	v_add_f16_e32 v2, v15, v35
	v_fma_f16 v7, v8, s7, v7
	v_fma_f16 v1, v8, s1, v1
	v_fma_f16 v2, v2, -0.5, v0
	v_fma_f16 v7, v4, s6, v7
	v_fma_f16 v1, v4, s6, v1
	v_sub_f16_e32 v4, v29, v15
	v_sub_f16_e32 v9, v28, v35
	v_add_f16_e32 v4, v4, v9
	v_fma_f16 v9, v8, s0, v2
	v_fma_f16 v2, v8, s12, v2
	;; [unrolled: 1-line block ×3, first 2 shown]
	v_sub_f16_e32 v9, v26, v31
	v_sub_f16_e32 v10, v27, v5
	v_lshrrev_b32_e32 v3, 16, v0
	v_fma_f16 v2, v6, s1, v2
	v_add_f16_e32 v9, v9, v10
	v_add_f16_e32 v10, v31, v5
	v_fma_f16 v6, v4, s6, v8
	v_fma_f16 v2, v4, s6, v2
	v_sub_f16_e32 v4, v15, v35
	v_fma_f16 v10, v10, -0.5, v3
	v_sub_f16_e32 v8, v29, v28
	v_fma_f16 v11, v4, s0, v10
	v_fma_f16 v10, v4, s12, v10
	;; [unrolled: 1-line block ×6, first 2 shown]
	v_add_f16_e32 v10, v26, v27
	v_fma_f16 v10, v10, -0.5, v3
	v_add_f16_e32 v3, v3, v26
	v_add_f16_e32 v0, v0, v15
	;; [unrolled: 1-line block ×4, first 2 shown]
	v_sub_f16_e32 v12, v31, v26
	v_add_f16_e32 v3, v3, v5
	v_sub_f16_e32 v5, v5, v27
	v_add_f16_e32 v0, v0, v28
	v_add_f16_e32 v5, v12, v5
	v_fma_f16 v12, v8, s12, v10
	v_fma_f16 v8, v8, s0, v10
	v_add_f16_e32 v0, v0, v35
	v_add_f16_e32 v3, v3, v27
	v_fma_f16 v10, v4, s1, v12
	v_fma_f16 v4, v4, s7, v8
	;; [unrolled: 1-line block ×4, first 2 shown]
	v_pack_b32_f16 v0, v0, v3
	v_pack_b32_f16 v3, v7, v11
	ds_write2_b32 v79, v0, v3 offset1:25
	v_pack_b32_f16 v0, v6, v8
	v_pack_b32_f16 v2, v2, v4
	ds_write2_b32 v79, v0, v2 offset0:50 offset1:75
	v_pack_b32_f16 v0, v1, v9
	ds_write_b32 v79, v0 offset:400
	s_waitcnt lgkmcnt(0)
	s_barrier
	ds_read2_b32 v[0:1], v59 offset0:116 offset1:241
	ds_read2_b32 v[2:3], v66 offset0:104 offset1:229
	ds_read_b32 v6, v45 offset:7000
	ds_read2_b32 v[4:5], v57 offset0:98 offset1:223
	s_waitcnt lgkmcnt(3)
	v_lshrrev_b32_e32 v7, 16, v1
	v_mul_f16_sdwa v10, v20, v7 dst_sel:DWORD dst_unused:UNUSED_PAD src0_sel:WORD_1 src1_sel:DWORD
	s_waitcnt lgkmcnt(1)
	v_lshrrev_b32_e32 v9, 16, v6
	v_fma_f16 v10, v20, v1, v10
	v_mul_f16_sdwa v1, v20, v1 dst_sel:DWORD dst_unused:UNUSED_PAD src0_sel:WORD_1 src1_sel:DWORD
	v_fma_f16 v7, v20, v7, -v1
	v_mul_f16_sdwa v1, v23, v9 dst_sel:DWORD dst_unused:UNUSED_PAD src0_sel:WORD_1 src1_sel:DWORD
	v_fma_f16 v11, v23, v6, v1
	v_mul_f16_sdwa v1, v23, v6 dst_sel:DWORD dst_unused:UNUSED_PAD src0_sel:WORD_1 src1_sel:DWORD
	v_lshrrev_b32_e32 v8, 16, v2
	v_fma_f16 v6, v23, v9, -v1
	v_mul_f16_sdwa v1, v21, v2 dst_sel:DWORD dst_unused:UNUSED_PAD src0_sel:WORD_1 src1_sel:DWORD
	v_fma_f16 v9, v21, v8, -v1
	v_mul_f16_sdwa v1, v21, v8 dst_sel:DWORD dst_unused:UNUSED_PAD src0_sel:WORD_1 src1_sel:DWORD
	v_fma_f16 v8, v21, v2, v1
	s_waitcnt lgkmcnt(0)
	v_lshrrev_b32_e32 v1, 16, v5
	v_mul_f16_sdwa v2, v22, v5 dst_sel:DWORD dst_unused:UNUSED_PAD src0_sel:WORD_1 src1_sel:DWORD
	v_fma_f16 v12, v22, v1, -v2
	v_mul_f16_sdwa v1, v22, v1 dst_sel:DWORD dst_unused:UNUSED_PAD src0_sel:WORD_1 src1_sel:DWORD
	v_fma_f16 v5, v22, v5, v1
	v_lshrrev_b32_e32 v1, 16, v3
	v_mul_f16_sdwa v2, v18, v1 dst_sel:DWORD dst_unused:UNUSED_PAD src0_sel:WORD_1 src1_sel:DWORD
	v_fma_f16 v13, v18, v3, v2
	v_mul_f16_sdwa v2, v18, v3 dst_sel:DWORD dst_unused:UNUSED_PAD src0_sel:WORD_1 src1_sel:DWORD
	v_fma_f16 v14, v18, v1, -v2
	ds_read2_b32 v[1:2], v67 offset0:110 offset1:235
	v_lshrrev_b32_e32 v3, 16, v0
	v_mul_f16_sdwa v15, v16, v3 dst_sel:DWORD dst_unused:UNUSED_PAD src0_sel:WORD_1 src1_sel:DWORD
	v_fma_f16 v15, v16, v0, v15
	v_mul_f16_sdwa v0, v16, v0 dst_sel:DWORD dst_unused:UNUSED_PAD src0_sel:WORD_1 src1_sel:DWORD
	v_fma_f16 v20, v16, v3, -v0
	s_waitcnt lgkmcnt(0)
	v_lshrrev_b32_e32 v0, 16, v1
	v_mul_f16_sdwa v3, v17, v1 dst_sel:DWORD dst_unused:UNUSED_PAD src0_sel:WORD_1 src1_sel:DWORD
	v_fma_f16 v21, v17, v0, -v3
	v_mul_f16_sdwa v0, v17, v0 dst_sel:DWORD dst_unused:UNUSED_PAD src0_sel:WORD_1 src1_sel:DWORD
	v_fma_f16 v22, v17, v1, v0
	v_lshrrev_b32_e32 v0, 16, v2
	v_mul_f16_sdwa v1, v17, v0 dst_sel:DWORD dst_unused:UNUSED_PAD src0_sel:WORD_1 src1_sel:DWORD
	v_fma_f16 v23, v17, v2, v1
	v_mul_f16_sdwa v1, v17, v2 dst_sel:DWORD dst_unused:UNUSED_PAD src0_sel:WORD_1 src1_sel:DWORD
	v_fma_f16 v17, v17, v0, -v1
	ds_read2_b32 v[0:1], v64 offset0:92 offset1:217
	v_lshrrev_b32_e32 v2, 16, v4
	v_mul_f16_sdwa v3, v18, v2 dst_sel:DWORD dst_unused:UNUSED_PAD src0_sel:WORD_1 src1_sel:DWORD
	v_fma_f16 v24, v18, v4, v3
	v_mul_f16_sdwa v3, v18, v4 dst_sel:DWORD dst_unused:UNUSED_PAD src0_sel:WORD_1 src1_sel:DWORD
	v_fma_f16 v4, v18, v2, -v3
	s_waitcnt lgkmcnt(0)
	v_lshrrev_b32_e32 v2, 16, v0
	v_mul_f16_sdwa v3, v19, v0 dst_sel:DWORD dst_unused:UNUSED_PAD src0_sel:WORD_1 src1_sel:DWORD
	v_fma_f16 v18, v19, v2, -v3
	v_mul_f16_sdwa v2, v19, v2 dst_sel:DWORD dst_unused:UNUSED_PAD src0_sel:WORD_1 src1_sel:DWORD
	v_fma_f16 v25, v19, v0, v2
	ds_read2_b32 v[2:3], v68 offset0:122 offset1:247
	v_lshrrev_b32_e32 v0, 16, v1
	v_mul_f16_sdwa v26, v19, v0 dst_sel:DWORD dst_unused:UNUSED_PAD src0_sel:WORD_1 src1_sel:DWORD
	v_fma_f16 v26, v19, v1, v26
	v_mul_f16_sdwa v1, v19, v1 dst_sel:DWORD dst_unused:UNUSED_PAD src0_sel:WORD_1 src1_sel:DWORD
	v_fma_f16 v19, v19, v0, -v1
	s_waitcnt lgkmcnt(0)
	v_lshrrev_b32_e32 v0, 16, v3
	v_mul_f16_sdwa v1, v16, v3 dst_sel:DWORD dst_unused:UNUSED_PAD src0_sel:WORD_1 src1_sel:DWORD
	v_fma_f16 v27, v16, v0, -v1
	v_mul_f16_sdwa v0, v16, v0 dst_sel:DWORD dst_unused:UNUSED_PAD src0_sel:WORD_1 src1_sel:DWORD
	v_fma_f16 v3, v16, v3, v0
	ds_read2_b32 v[0:1], v45 offset1:125
	v_sub_f16_e32 v16, v3, v22
	v_sub_f16_e32 v28, v25, v13
	v_add_f16_e32 v16, v16, v28
	v_sub_f16_e32 v28, v27, v21
	v_sub_f16_e32 v29, v18, v14
	s_waitcnt lgkmcnt(0)
	v_lshrrev_b32_e32 v30, 16, v0
	v_add_f16_e32 v28, v28, v29
	v_add_f16_e32 v29, v0, v3
	;; [unrolled: 1-line block ×9, first 2 shown]
	v_pack_b32_f16 v29, v29, v31
	v_add_f16_e32 v31, v22, v13
	v_sub_f16_e32 v71, v3, v25
	v_sub_f16_e32 v73, v22, v13
	;; [unrolled: 1-line block ×3, first 2 shown]
	v_add_f16_e32 v3, v3, v25
	v_fma_f16 v31, v31, -0.5, v0
	v_sub_f16_e32 v69, v21, v14
	v_fma_f16 v0, v3, -0.5, v0
	v_sub_f16_e32 v35, v27, v18
	v_sub_f16_e32 v13, v13, v25
	v_fma_f16 v3, v69, s0, v0
	v_fma_f16 v0, v69, s12, v0
	v_add_f16_e32 v13, v22, v13
	v_fma_f16 v3, v35, s7, v3
	v_fma_f16 v0, v35, s1, v0
	;; [unrolled: 1-line block ×4, first 2 shown]
	v_add_f16_e32 v13, v27, v18
	v_fma_f16 v13, v13, -0.5, v30
	v_add_f16_e32 v70, v21, v14
	v_sub_f16_e32 v21, v21, v27
	v_sub_f16_e32 v14, v14, v18
	v_fma_f16 v18, v73, s12, v13
	v_fma_f16 v13, v73, s0, v13
	v_add_f16_e32 v14, v21, v14
	v_fma_f16 v18, v71, s1, v18
	v_fma_f16 v13, v71, s7, v13
	;; [unrolled: 1-line block ×4, first 2 shown]
	v_pack_b32_f16 v3, v3, v18
	v_pack_b32_f16 v0, v0, v13
	v_add_f16_e32 v13, v23, v24
	v_sub_f16_e32 v18, v15, v23
	v_sub_f16_e32 v21, v26, v24
	v_fma_f16 v13, v13, -0.5, v1
	v_add_f16_e32 v18, v18, v21
	v_sub_f16_e32 v21, v20, v19
	v_fma_f16 v22, v21, s12, v13
	v_sub_f16_e32 v25, v17, v4
	v_fma_f16 v13, v21, s0, v13
	v_fma_f16 v36, v35, s12, v31
	s_barrier
	ds_write2_b32 v68, v3, v0 offset0:122 offset1:247
	v_fma_f16 v0, v35, s0, v31
	v_add_f16_e32 v14, v15, v26
	v_fma_f16 v22, v25, s7, v22
	v_fma_f16 v13, v25, s1, v13
	;; [unrolled: 1-line block ×4, first 2 shown]
	v_fma_f16 v14, v14, -0.5, v1
	v_fma_f16 v22, v18, s6, v22
	v_fma_f16 v13, v18, s6, v13
	v_sub_f16_e32 v18, v23, v15
	v_sub_f16_e32 v27, v24, v26
	v_fma_f16 v36, v16, s6, v36
	v_fma_f16 v0, v16, s6, v0
	v_lshrrev_b32_e32 v16, 16, v1
	v_add_f16_e32 v1, v1, v15
	v_add_f16_e32 v18, v18, v27
	v_fma_f16 v27, v25, s0, v14
	v_fma_f16 v14, v25, s12, v14
	;; [unrolled: 1-line block ×4, first 2 shown]
	v_add_f16_e32 v1, v1, v23
	v_fma_f16 v21, v18, s6, v25
	v_fma_f16 v14, v18, s6, v14
	v_add_f16_e32 v1, v1, v24
	v_sub_f16_e32 v18, v23, v24
	v_sub_f16_e32 v23, v20, v17
	;; [unrolled: 1-line block ×3, first 2 shown]
	v_add_f16_e32 v23, v23, v24
	v_add_f16_e32 v24, v17, v4
	v_sub_f16_e32 v15, v15, v26
	v_fma_f16 v24, v24, -0.5, v16
	v_fma_f16 v25, v15, s0, v24
	v_fma_f16 v24, v15, s12, v24
	;; [unrolled: 1-line block ×6, first 2 shown]
	v_add_f16_e32 v24, v20, v19
	v_fma_f16 v24, v24, -0.5, v16
	v_add_f16_e32 v16, v16, v20
	v_add_f16_e32 v16, v16, v17
	v_sub_f16_e32 v17, v17, v20
	v_add_f16_e32 v16, v16, v4
	v_sub_f16_e32 v4, v4, v19
	v_add_f16_e32 v4, v17, v4
	v_fma_f16 v17, v18, s12, v24
	v_fma_f16 v18, v18, s0, v24
	;; [unrolled: 1-line block ×6, first 2 shown]
	v_add_f16_e32 v15, v8, v5
	v_add_f16_e32 v18, v10, v11
	v_sub_f16_e32 v20, v10, v8
	v_sub_f16_e32 v24, v11, v5
	v_fma_f16 v70, v70, -0.5, v30
	v_add_f16_e32 v16, v16, v19
	v_fma_f16 v15, v15, -0.5, v2
	v_fma_f16 v18, v18, -0.5, v2
	v_lshrrev_b32_e32 v19, 16, v2
	v_add_f16_e32 v2, v2, v10
	v_add_f16_e32 v20, v20, v24
	v_sub_f16_e32 v24, v7, v6
	v_fma_f16 v72, v71, s0, v70
	v_fma_f16 v3, v71, s12, v70
	v_add_f16_e32 v1, v1, v26
	v_fma_f16 v26, v24, s12, v15
	v_sub_f16_e32 v27, v9, v12
	v_fma_f16 v15, v24, s0, v15
	v_add_f16_e32 v2, v2, v8
	v_fma_f16 v72, v73, s1, v72
	v_fma_f16 v3, v73, s7, v3
	;; [unrolled: 1-line block ×4, first 2 shown]
	v_add_f16_e32 v2, v2, v5
	v_fma_f16 v72, v28, s6, v72
	v_fma_f16 v3, v28, s6, v3
	;; [unrolled: 1-line block ×4, first 2 shown]
	v_sub_f16_e32 v20, v8, v10
	v_sub_f16_e32 v28, v5, v11
	v_add_f16_e32 v2, v2, v11
	v_sub_f16_e32 v10, v10, v11
	v_sub_f16_e32 v5, v8, v5
	;; [unrolled: 1-line block ×4, first 2 shown]
	v_add_f16_e32 v20, v20, v28
	v_fma_f16 v28, v27, s0, v18
	v_fma_f16 v18, v27, s12, v18
	v_add_f16_e32 v8, v8, v11
	v_add_f16_e32 v11, v9, v12
	v_fma_f16 v27, v24, s7, v28
	v_fma_f16 v18, v24, s1, v18
	v_fma_f16 v11, v11, -0.5, v19
	v_fma_f16 v24, v20, s6, v27
	v_fma_f16 v18, v20, s6, v18
	;; [unrolled: 1-line block ×8, first 2 shown]
	v_add_f16_e32 v11, v7, v6
	v_fma_f16 v11, v11, -0.5, v19
	v_add_f16_e32 v19, v19, v7
	v_add_f16_e32 v19, v19, v9
	v_sub_f16_e32 v7, v9, v7
	v_add_f16_e32 v9, v19, v12
	v_add_f16_e32 v9, v9, v6
	v_sub_f16_e32 v6, v12, v6
	v_pack_b32_f16 v0, v0, v3
	v_pack_b32_f16 v1, v1, v16
	v_add_f16_e32 v6, v7, v6
	v_fma_f16 v7, v5, s12, v11
	v_fma_f16 v5, v5, s0, v11
	ds_write2_b32 v59, v0, v1 offset0:116 offset1:241
	v_pack_b32_f16 v0, v22, v25
	v_pack_b32_f16 v1, v21, v17
	v_fma_f16 v7, v10, s1, v7
	v_fma_f16 v5, v10, s7, v5
	ds_write2_b32 v67, v0, v1 offset0:110 offset1:235
	v_pack_b32_f16 v0, v14, v4
	v_pack_b32_f16 v1, v13, v23
	v_pack_b32_f16 v36, v36, v72
	v_fma_f16 v7, v6, s6, v7
	v_fma_f16 v5, v6, s6, v5
	ds_write2_b32 v66, v0, v1 offset0:104 offset1:229
	v_pack_b32_f16 v0, v2, v9
	v_pack_b32_f16 v1, v26, v20
	ds_write2_b32 v45, v29, v36 offset1:125
	ds_write2_b32 v81, v0, v1 offset0:98 offset1:223
	v_pack_b32_f16 v0, v24, v7
	v_pack_b32_f16 v1, v18, v5
	ds_write2_b32 v82, v0, v1 offset0:92 offset1:217
	v_pack_b32_f16 v0, v15, v8
	ds_write_b32 v80, v0 offset:7000
	s_waitcnt lgkmcnt(0)
	s_barrier
	ds_read2_b32 v[0:1], v45 offset1:125
	ds_read2_b32 v[2:3], v59 offset0:116 offset1:241
	ds_read2_b32 v[4:5], v57 offset0:98 offset1:223
	;; [unrolled: 1-line block ×4, first 2 shown]
	ds_read_b32 v27, v45 offset:7000
	s_waitcnt lgkmcnt(4)
	v_lshrrev_b32_e32 v13, 16, v3
	v_mul_f16_sdwa v21, v41, v13 dst_sel:DWORD dst_unused:UNUSED_PAD src0_sel:WORD_1 src1_sel:DWORD
	v_fma_f16 v21, v41, v3, v21
	v_mul_f16_sdwa v3, v41, v3 dst_sel:DWORD dst_unused:UNUSED_PAD src0_sel:WORD_1 src1_sel:DWORD
	s_waitcnt lgkmcnt(3)
	v_lshrrev_b32_e32 v14, 16, v4
	s_waitcnt lgkmcnt(2)
	v_lshrrev_b32_e32 v19, 16, v7
	v_fma_f16 v13, v41, v13, -v3
	v_mul_f16_sdwa v3, v42, v4 dst_sel:DWORD dst_unused:UNUSED_PAD src0_sel:WORD_1 src1_sel:DWORD
	v_lshrrev_b32_e32 v17, 16, v5
	v_fma_f16 v22, v42, v14, -v3
	v_mul_f16_sdwa v3, v42, v14 dst_sel:DWORD dst_unused:UNUSED_PAD src0_sel:WORD_1 src1_sel:DWORD
	v_mul_f16_sdwa v24, v37, v19 dst_sel:DWORD dst_unused:UNUSED_PAD src0_sel:WORD_1 src1_sel:DWORD
	v_fma_f16 v14, v42, v4, v3
	v_mul_f16_sdwa v3, v40, v17 dst_sel:DWORD dst_unused:UNUSED_PAD src0_sel:WORD_1 src1_sel:DWORD
	v_fma_f16 v24, v37, v7, v24
	v_mul_f16_sdwa v7, v37, v7 dst_sel:DWORD dst_unused:UNUSED_PAD src0_sel:WORD_1 src1_sel:DWORD
	s_waitcnt lgkmcnt(1)
	v_lshrrev_b32_e32 v20, 16, v10
	v_fma_f16 v23, v40, v5, v3
	ds_read2_b32 v[3:4], v66 offset0:104 offset1:229
	v_fma_f16 v7, v37, v19, -v7
	v_mul_f16_sdwa v19, v38, v10 dst_sel:DWORD dst_unused:UNUSED_PAD src0_sel:WORD_1 src1_sel:DWORD
	v_fma_f16 v19, v38, v20, -v19
	v_mul_f16_sdwa v20, v38, v20 dst_sel:DWORD dst_unused:UNUSED_PAD src0_sel:WORD_1 src1_sel:DWORD
	v_fma_f16 v10, v38, v10, v20
	v_lshrrev_b32_e32 v20, 16, v11
	v_mul_f16_sdwa v26, v34, v20 dst_sel:DWORD dst_unused:UNUSED_PAD src0_sel:WORD_1 src1_sel:DWORD
	v_fma_f16 v26, v34, v11, v26
	v_mul_f16_sdwa v11, v34, v11 dst_sel:DWORD dst_unused:UNUSED_PAD src0_sel:WORD_1 src1_sel:DWORD
	s_waitcnt lgkmcnt(0)
	v_lshrrev_b32_e32 v25, 16, v3
	v_fma_f16 v11, v34, v20, -v11
	v_mul_f16_sdwa v20, v33, v3 dst_sel:DWORD dst_unused:UNUSED_PAD src0_sel:WORD_1 src1_sel:DWORD
	v_fma_f16 v20, v33, v25, -v20
	v_mul_f16_sdwa v25, v33, v25 dst_sel:DWORD dst_unused:UNUSED_PAD src0_sel:WORD_1 src1_sel:DWORD
	v_fma_f16 v3, v33, v3, v25
	v_lshrrev_b32_e32 v25, 16, v4
	v_mul_f16_sdwa v28, v43, v25 dst_sel:DWORD dst_unused:UNUSED_PAD src0_sel:WORD_1 src1_sel:DWORD
	v_fma_f16 v28, v43, v4, v28
	v_mul_f16_sdwa v4, v43, v4 dst_sel:DWORD dst_unused:UNUSED_PAD src0_sel:WORD_1 src1_sel:DWORD
	v_lshrrev_b32_e32 v29, 16, v27
	v_fma_f16 v4, v43, v25, -v4
	v_mul_f16_sdwa v25, v44, v29 dst_sel:DWORD dst_unused:UNUSED_PAD src0_sel:WORD_1 src1_sel:DWORD
	v_mul_f16_sdwa v5, v40, v5 dst_sel:DWORD dst_unused:UNUSED_PAD src0_sel:WORD_1 src1_sel:DWORD
	v_fma_f16 v25, v44, v27, v25
	v_mul_f16_sdwa v27, v44, v27 dst_sel:DWORD dst_unused:UNUSED_PAD src0_sel:WORD_1 src1_sel:DWORD
	v_lshrrev_b32_e32 v16, 16, v6
	v_fma_f16 v5, v40, v17, -v5
	v_mul_f16_sdwa v17, v39, v6 dst_sel:DWORD dst_unused:UNUSED_PAD src0_sel:WORD_1 src1_sel:DWORD
	v_fma_f16 v27, v44, v29, -v27
	v_add_f16_e32 v29, v21, v14
	v_lshrrev_b32_e32 v12, 16, v0
	v_fma_f16 v17, v39, v16, -v17
	v_mul_f16_sdwa v16, v39, v16 dst_sel:DWORD dst_unused:UNUSED_PAD src0_sel:WORD_1 src1_sel:DWORD
	v_fma_f16 v29, v29, -0.5, v0
	v_sub_f16_e32 v30, v13, v22
	v_fma_f16 v6, v39, v6, v16
	v_fma_f16 v31, v30, s15, v29
	;; [unrolled: 1-line block ×3, first 2 shown]
	v_add_f16_e32 v30, v12, v13
	v_add_f16_e32 v13, v13, v22
	;; [unrolled: 1-line block ×3, first 2 shown]
	v_fma_f16 v12, v13, -0.5, v12
	v_sub_f16_e32 v13, v21, v14
	v_add_f16_e32 v21, v6, v23
	ds_read2_b32 v[8:9], v68 offset0:122 offset1:247
	v_lshrrev_b32_e32 v15, 16, v1
	v_add_f16_e32 v0, v0, v14
	v_fma_f16 v14, v13, s13, v12
	v_fma_f16 v12, v13, s15, v12
	v_add_f16_e32 v13, v1, v6
	v_fma_f16 v1, v21, -0.5, v1
	v_sub_f16_e32 v21, v17, v5
	v_add_f16_e32 v30, v30, v22
	v_fma_f16 v22, v21, s15, v1
	v_fma_f16 v1, v21, s13, v1
	v_add_f16_e32 v21, v15, v17
	v_add_f16_e32 v21, v21, v5
	;; [unrolled: 1-line block ×3, first 2 shown]
	v_fma_f16 v5, v5, -0.5, v15
	v_sub_f16_e32 v6, v6, v23
	v_fma_f16 v15, v6, s13, v5
	v_fma_f16 v5, v6, s15, v5
	v_add_f16_e32 v6, v24, v10
	s_waitcnt lgkmcnt(0)
	v_lshrrev_b32_e32 v18, 16, v8
	v_fma_f16 v6, v6, -0.5, v8
	v_sub_f16_e32 v17, v7, v19
	v_add_f16_e32 v13, v13, v23
	v_fma_f16 v23, v17, s15, v6
	v_fma_f16 v6, v17, s13, v6
	v_add_f16_e32 v17, v18, v7
	v_add_f16_e32 v7, v7, v19
	;; [unrolled: 1-line block ×5, first 2 shown]
	v_fma_f16 v7, v7, -0.5, v18
	v_sub_f16_e32 v10, v24, v10
	v_add_f16_e32 v19, v3, v26
	v_lshrrev_b32_e32 v16, 16, v9
	v_fma_f16 v18, v10, s13, v7
	v_fma_f16 v7, v10, s15, v7
	v_add_f16_e32 v10, v9, v3
	v_fma_f16 v9, v19, -0.5, v9
	v_sub_f16_e32 v19, v20, v11
	v_fma_f16 v24, v19, s15, v9
	v_fma_f16 v9, v19, s13, v9
	v_add_f16_e32 v19, v16, v20
	v_add_f16_e32 v19, v19, v11
	;; [unrolled: 1-line block ×3, first 2 shown]
	v_pack_b32_f16 v12, v29, v12
	v_add_f16_e32 v10, v10, v26
	v_fma_f16 v11, v11, -0.5, v16
	v_sub_f16_e32 v3, v3, v26
	v_add_f16_e32 v26, v28, v25
	v_pack_b32_f16 v0, v0, v30
	v_pack_b32_f16 v14, v31, v14
	ds_write_b32 v45, v12 offset:5000
	v_pack_b32_f16 v12, v13, v21
	v_lshrrev_b32_e32 v20, 16, v2
	v_fma_f16 v16, v3, s13, v11
	v_fma_f16 v3, v3, s15, v11
	v_add_f16_e32 v11, v2, v28
	v_fma_f16 v2, v26, -0.5, v2
	v_sub_f16_e32 v26, v4, v27
	ds_write_b32 v45, v14 offset:2500
	ds_write2_b32 v45, v0, v12 offset1:125
	v_pack_b32_f16 v0, v22, v15
	v_pack_b32_f16 v1, v1, v5
	;; [unrolled: 1-line block ×4, first 2 shown]
	v_fma_f16 v33, v26, s15, v2
	v_fma_f16 v2, v26, s13, v2
	v_add_f16_e32 v26, v20, v4
	v_add_f16_e32 v4, v4, v27
	ds_write2_b32 v67, v0, v8 offset0:110 offset1:235
	v_pack_b32_f16 v0, v6, v7
	v_add_f16_e32 v11, v11, v25
	v_add_f16_e32 v26, v26, v27
	v_fma_f16 v4, v4, -0.5, v20
	v_sub_f16_e32 v20, v28, v25
	ds_write2_b32 v83, v1, v0 offset0:95 offset1:220
	v_pack_b32_f16 v0, v10, v19
	v_pack_b32_f16 v1, v9, v3
	v_fma_f16 v25, v20, s13, v4
	ds_write2_b32 v68, v5, v0 offset0:122 offset1:247
	ds_write_b32 v45, v1 offset:6500
	v_pack_b32_f16 v1, v11, v26
	v_fma_f16 v4, v20, s15, v4
	v_pack_b32_f16 v0, v24, v16
	ds_write_b32 v45, v1 offset:2000
	v_pack_b32_f16 v1, v33, v25
	ds_write2_b32 v66, v0, v1 offset0:104 offset1:229
	v_pack_b32_f16 v0, v2, v4
	ds_write_b32 v45, v0 offset:7000
	s_waitcnt lgkmcnt(0)
	s_barrier
	ds_read2_b32 v[2:3], v45 offset1:125
	v_mad_u64_u32 v[4:5], s[0:1], s10, v32, 0
	s_movk_i32 s6, 0x1ff
	s_movk_i32 s7, 0xffe
	s_waitcnt lgkmcnt(0)
	v_lshrrev_b32_e32 v7, 16, v2
	v_mul_f16_sdwa v0, v65, v7 dst_sel:DWORD dst_unused:UNUSED_PAD src0_sel:WORD_1 src1_sel:DWORD
	v_fma_f16 v0, v65, v2, v0
	v_cvt_f32_f16_e32 v0, v0
	v_mad_u64_u32 v[5:6], s[0:1], s11, v32, v[5:6]
	v_mul_f16_sdwa v2, v65, v2 dst_sel:DWORD dst_unused:UNUSED_PAD src0_sel:WORD_1 src1_sel:DWORD
	v_cvt_f64_f32_e32 v[0:1], v0
	v_fma_f16 v2, v65, v7, -v2
	v_cvt_f32_f16_e32 v2, v2
	s_movk_i32 s10, 0x40f
	v_mul_f64 v[0:1], v[0:1], s[2:3]
	s_mov_b32 s11, 0x8000
	v_lshlrev_b64 v[4:5], 2, v[4:5]
	v_and_or_b32 v0, v1, s6, v0
	v_cmp_ne_u32_e32 vcc, 0, v0
	v_cndmask_b32_e64 v0, 0, 1, vcc
	v_lshrrev_b32_e32 v6, 8, v1
	v_bfe_u32 v8, v1, 20, 11
	v_and_or_b32 v0, v6, s7, v0
	v_sub_u32_e32 v9, 0x3f1, v8
	v_or_b32_e32 v6, 0x1000, v0
	v_med3_i32 v9, v9, 0, 13
	v_lshrrev_b32_e32 v10, v9, v6
	v_lshlrev_b32_e32 v9, v9, v10
	v_cmp_ne_u32_e32 vcc, v9, v6
	v_cndmask_b32_e64 v6, 0, 1, vcc
	v_add_u32_e32 v9, 0xfffffc10, v8
	v_or_b32_e32 v6, v10, v6
	v_lshl_or_b32 v8, v9, 12, v0
	v_cmp_gt_i32_e32 vcc, 1, v9
	v_cndmask_b32_e32 v6, v8, v6, vcc
	v_and_b32_e32 v8, 7, v6
	v_cmp_lt_i32_e32 vcc, 5, v8
	v_cmp_eq_u32_e64 s[0:1], 3, v8
	v_lshrrev_b32_e32 v6, 2, v6
	s_or_b64 vcc, s[0:1], vcc
	v_addc_co_u32_e32 v10, vcc, 0, v6, vcc
	v_cvt_f64_f32_e32 v[6:7], v2
	v_mov_b32_e32 v8, 0x7c00
	v_cmp_gt_i32_e32 vcc, 31, v9
	v_cndmask_b32_e32 v2, v8, v10, vcc
	v_mul_f64 v[6:7], v[6:7], s[2:3]
	v_cmp_ne_u32_e32 vcc, 0, v0
	v_cndmask_b32_e64 v0, 0, 1, vcc
	v_lshl_or_b32 v0, v0, 9, v8
	v_cmp_eq_u32_e32 vcc, s10, v9
	v_cndmask_b32_e32 v0, v2, v0, vcc
	v_lshrrev_b32_e32 v1, 16, v1
	v_and_or_b32 v11, v1, s11, v0
	v_and_or_b32 v0, v7, s6, v6
	v_cmp_ne_u32_e32 vcc, 0, v0
	v_cndmask_b32_e64 v0, 0, 1, vcc
	v_lshrrev_b32_e32 v1, 8, v7
	v_bfe_u32 v2, v7, 20, 11
	v_and_or_b32 v0, v1, s7, v0
	v_sub_u32_e32 v6, 0x3f1, v2
	v_or_b32_e32 v1, 0x1000, v0
	v_med3_i32 v6, v6, 0, 13
	v_lshrrev_b32_e32 v9, v6, v1
	v_lshlrev_b32_e32 v6, v6, v9
	v_cmp_ne_u32_e32 vcc, v6, v1
	v_cndmask_b32_e64 v1, 0, 1, vcc
	v_add_u32_e32 v2, 0xfffffc10, v2
	v_or_b32_e32 v1, v9, v1
	v_lshl_or_b32 v6, v2, 12, v0
	v_cmp_gt_i32_e32 vcc, 1, v2
	v_cndmask_b32_e32 v1, v6, v1, vcc
	v_and_b32_e32 v6, 7, v1
	v_cmp_lt_i32_e32 vcc, 5, v6
	v_cmp_eq_u32_e64 s[0:1], 3, v6
	v_lshrrev_b32_e32 v1, 2, v1
	s_or_b64 vcc, s[0:1], vcc
	v_addc_co_u32_e32 v1, vcc, 0, v1, vcc
	v_cmp_gt_i32_e32 vcc, 31, v2
	v_cndmask_b32_e32 v1, v8, v1, vcc
	v_cmp_ne_u32_e32 vcc, 0, v0
	v_cndmask_b32_e64 v0, 0, 1, vcc
	v_lshl_or_b32 v0, v0, 9, v8
	v_cmp_eq_u32_e32 vcc, s10, v2
	v_mad_u64_u32 v[9:10], s[0:1], s8, v63, 0
	v_cndmask_b32_e32 v12, v1, v0, vcc
	ds_read2_b32 v[0:1], v68 offset0:122 offset1:247
	v_mov_b32_e32 v2, v10
	v_lshrrev_b32_e32 v13, 16, v7
	v_mad_u64_u32 v[6:7], s[0:1], s9, v63, v[2:3]
	s_waitcnt lgkmcnt(0)
	v_lshrrev_b32_e32 v2, 16, v1
	v_mul_f16_sdwa v7, v62, v2 dst_sel:DWORD dst_unused:UNUSED_PAD src0_sel:WORD_1 src1_sel:DWORD
	v_fma_f16 v7, v62, v1, v7
	v_cvt_f32_f16_e32 v7, v7
	v_mov_b32_e32 v10, v6
	v_and_or_b32 v12, v13, s11, v12
	v_and_b32_e32 v11, 0xffff, v11
	v_cvt_f64_f32_e32 v[6:7], v7
	v_lshl_or_b32 v11, v12, 16, v11
	v_mov_b32_e32 v12, s5
	v_add_co_u32_e32 v13, vcc, s4, v4
	v_mul_f64 v[6:7], v[6:7], s[2:3]
	v_addc_co_u32_e32 v12, vcc, v12, v5, vcc
	v_lshlrev_b64 v[4:5], 2, v[9:10]
	v_mul_f16_sdwa v1, v62, v1 dst_sel:DWORD dst_unused:UNUSED_PAD src0_sel:WORD_1 src1_sel:DWORD
	v_add_co_u32_e32 v9, vcc, v13, v4
	v_addc_co_u32_e32 v10, vcc, v12, v5, vcc
	v_and_or_b32 v4, v7, s6, v6
	v_cmp_ne_u32_e32 vcc, 0, v4
	v_fma_f16 v1, v62, v2, -v1
	v_cndmask_b32_e64 v4, 0, 1, vcc
	v_lshrrev_b32_e32 v5, 8, v7
	v_bfe_u32 v6, v7, 20, 11
	v_cvt_f32_f16_e32 v1, v1
	global_store_dword v[9:10], v11, off
	v_and_or_b32 v4, v5, s7, v4
	v_sub_u32_e32 v11, 0x3f1, v6
	v_or_b32_e32 v5, 0x1000, v4
	v_med3_i32 v11, v11, 0, 13
	v_lshrrev_b32_e32 v12, v11, v5
	v_lshlrev_b32_e32 v11, v11, v12
	v_cvt_f64_f32_e32 v[1:2], v1
	v_cmp_ne_u32_e32 vcc, v11, v5
	v_cndmask_b32_e64 v5, 0, 1, vcc
	v_add_u32_e32 v6, 0xfffffc10, v6
	v_or_b32_e32 v5, v12, v5
	v_lshl_or_b32 v11, v6, 12, v4
	v_cmp_gt_i32_e32 vcc, 1, v6
	v_cndmask_b32_e32 v5, v11, v5, vcc
	v_mul_f64 v[1:2], v[1:2], s[2:3]
	v_and_b32_e32 v11, 7, v5
	v_cmp_lt_i32_e32 vcc, 5, v11
	v_cmp_eq_u32_e64 s[0:1], 3, v11
	v_lshrrev_b32_e32 v5, 2, v5
	s_or_b64 vcc, s[0:1], vcc
	v_addc_co_u32_e32 v5, vcc, 0, v5, vcc
	v_cmp_gt_i32_e32 vcc, 31, v6
	v_cndmask_b32_e32 v5, v8, v5, vcc
	v_cmp_ne_u32_e32 vcc, 0, v4
	v_cndmask_b32_e64 v4, 0, 1, vcc
	v_lshl_or_b32 v4, v4, 9, v8
	v_cmp_eq_u32_e32 vcc, s10, v6
	v_and_or_b32 v1, v2, s6, v1
	v_cndmask_b32_e32 v4, v5, v4, vcc
	v_lshrrev_b32_e32 v5, 16, v7
	v_cmp_ne_u32_e32 vcc, 0, v1
	v_and_or_b32 v6, v5, s11, v4
	v_cndmask_b32_e64 v1, 0, 1, vcc
	v_lshrrev_b32_e32 v4, 8, v2
	v_bfe_u32 v5, v2, 20, 11
	v_and_or_b32 v1, v4, s7, v1
	v_sub_u32_e32 v7, 0x3f1, v5
	v_or_b32_e32 v4, 0x1000, v1
	v_med3_i32 v7, v7, 0, 13
	v_lshrrev_b32_e32 v11, v7, v4
	v_lshlrev_b32_e32 v7, v7, v11
	v_cmp_ne_u32_e32 vcc, v7, v4
	v_cndmask_b32_e64 v4, 0, 1, vcc
	v_add_u32_e32 v7, 0xfffffc10, v5
	v_or_b32_e32 v4, v11, v4
	v_lshl_or_b32 v5, v7, 12, v1
	v_cmp_gt_i32_e32 vcc, 1, v7
	v_cndmask_b32_e32 v4, v5, v4, vcc
	v_and_b32_e32 v5, 7, v4
	v_cmp_lt_i32_e32 vcc, 5, v5
	v_cmp_eq_u32_e64 s[0:1], 3, v5
	v_lshrrev_b32_e32 v4, 2, v4
	s_or_b64 vcc, s[0:1], vcc
	v_addc_co_u32_e32 v4, vcc, 0, v4, vcc
	v_cmp_gt_i32_e32 vcc, 31, v7
	v_cndmask_b32_e32 v11, v8, v4, vcc
	ds_read2_b32 v[4:5], v67 offset0:110 offset1:235
	v_cmp_ne_u32_e32 vcc, 0, v1
	v_cndmask_b32_e64 v1, 0, 1, vcc
	v_lshl_or_b32 v1, v1, 9, v8
	v_cmp_eq_u32_e32 vcc, s10, v7
	v_cndmask_b32_e32 v1, v11, v1, vcc
	s_waitcnt lgkmcnt(0)
	v_lshrrev_b32_e32 v11, 16, v4
	v_mul_f16_sdwa v7, v61, v11 dst_sel:DWORD dst_unused:UNUSED_PAD src0_sel:WORD_1 src1_sel:DWORD
	v_fma_f16 v7, v61, v4, v7
	v_cvt_f32_f16_e32 v7, v7
	v_lshrrev_b32_e32 v2, 16, v2
	v_and_or_b32 v1, v2, s11, v1
	v_and_b32_e32 v2, 0xffff, v6
	v_lshl_or_b32 v12, v1, 16, v2
	v_cvt_f64_f32_e32 v[1:2], v7
	s_mul_i32 s0, s9, 0x5dc
	s_mul_hi_u32 s4, s8, 0x5dc
	s_add_i32 s4, s4, s0
	v_mul_f64 v[1:2], v[1:2], s[2:3]
	s_mul_i32 s5, s8, 0x5dc
	v_mov_b32_e32 v7, s4
	v_add_co_u32_e32 v6, vcc, s5, v9
	v_addc_co_u32_e32 v7, vcc, v10, v7, vcc
	global_store_dword v[6:7], v12, off
	v_and_or_b32 v1, v2, s6, v1
	v_cmp_ne_u32_e32 vcc, 0, v1
	v_cndmask_b32_e64 v1, 0, 1, vcc
	v_lshrrev_b32_e32 v9, 8, v2
	v_bfe_u32 v10, v2, 20, 11
	v_and_or_b32 v1, v9, s7, v1
	v_sub_u32_e32 v12, 0x3f1, v10
	v_or_b32_e32 v9, 0x1000, v1
	v_med3_i32 v12, v12, 0, 13
	v_lshrrev_b32_e32 v13, v12, v9
	v_lshlrev_b32_e32 v12, v12, v13
	v_mul_f16_sdwa v4, v61, v4 dst_sel:DWORD dst_unused:UNUSED_PAD src0_sel:WORD_1 src1_sel:DWORD
	v_cmp_ne_u32_e32 vcc, v12, v9
	v_fma_f16 v4, v61, v11, -v4
	v_cndmask_b32_e64 v9, 0, 1, vcc
	v_add_u32_e32 v12, 0xfffffc10, v10
	v_cvt_f32_f16_e32 v4, v4
	v_or_b32_e32 v9, v13, v9
	v_lshl_or_b32 v10, v12, 12, v1
	v_cmp_gt_i32_e32 vcc, 1, v12
	v_cndmask_b32_e32 v9, v10, v9, vcc
	v_and_b32_e32 v10, 7, v9
	v_cmp_lt_i32_e32 vcc, 5, v10
	v_cmp_eq_u32_e64 s[0:1], 3, v10
	v_lshrrev_b32_e32 v11, 2, v9
	v_cvt_f64_f32_e32 v[9:10], v4
	s_or_b64 vcc, s[0:1], vcc
	v_addc_co_u32_e32 v4, vcc, 0, v11, vcc
	v_mul_f64 v[9:10], v[9:10], s[2:3]
	v_cmp_gt_i32_e32 vcc, 31, v12
	v_cndmask_b32_e32 v4, v8, v4, vcc
	v_cmp_ne_u32_e32 vcc, 0, v1
	v_cndmask_b32_e64 v1, 0, 1, vcc
	v_lshl_or_b32 v1, v1, 9, v8
	v_cmp_eq_u32_e32 vcc, s10, v12
	v_cndmask_b32_e32 v1, v4, v1, vcc
	v_lshrrev_b32_e32 v2, 16, v2
	v_and_or_b32 v4, v2, s11, v1
	v_and_or_b32 v1, v10, s6, v9
	v_cmp_ne_u32_e32 vcc, 0, v1
	v_cndmask_b32_e64 v1, 0, 1, vcc
	v_lshrrev_b32_e32 v2, 8, v10
	v_and_or_b32 v9, v2, s7, v1
	v_bfe_u32 v2, v10, 20, 11
	v_sub_u32_e32 v11, 0x3f1, v2
	v_or_b32_e32 v1, 0x1000, v9
	v_med3_i32 v11, v11, 0, 13
	v_lshrrev_b32_e32 v12, v11, v1
	v_lshlrev_b32_e32 v11, v11, v12
	v_cmp_ne_u32_e32 vcc, v11, v1
	v_cndmask_b32_e64 v1, 0, 1, vcc
	v_add_u32_e32 v11, 0xfffffc10, v2
	v_or_b32_e32 v1, v12, v1
	v_lshl_or_b32 v2, v11, 12, v9
	v_cmp_gt_i32_e32 vcc, 1, v11
	v_cndmask_b32_e32 v1, v2, v1, vcc
	v_and_b32_e32 v2, 7, v1
	v_cmp_lt_i32_e32 vcc, 5, v2
	v_cmp_eq_u32_e64 s[0:1], 3, v2
	v_lshrrev_b32_e32 v1, 2, v1
	s_or_b64 vcc, s[0:1], vcc
	v_addc_co_u32_e32 v12, vcc, 0, v1, vcc
	ds_read2_b32 v[1:2], v66 offset0:104 offset1:229
	v_cmp_gt_i32_e32 vcc, 31, v11
	v_cndmask_b32_e32 v12, v8, v12, vcc
	v_cmp_ne_u32_e32 vcc, 0, v9
	v_cndmask_b32_e64 v9, 0, 1, vcc
	s_waitcnt lgkmcnt(0)
	v_lshrrev_b32_e32 v13, 16, v2
	v_mul_f16_sdwa v14, v60, v13 dst_sel:DWORD dst_unused:UNUSED_PAD src0_sel:WORD_1 src1_sel:DWORD
	v_fma_f16 v14, v60, v2, v14
	v_cvt_f32_f16_e32 v14, v14
	v_lshl_or_b32 v9, v9, 9, v8
	v_cmp_eq_u32_e32 vcc, s10, v11
	v_cndmask_b32_e32 v9, v12, v9, vcc
	v_cvt_f64_f32_e32 v[11:12], v14
	v_lshrrev_b32_e32 v10, 16, v10
	v_and_or_b32 v14, v10, s11, v9
	v_and_b32_e32 v4, 0xffff, v4
	v_mul_f64 v[9:10], v[11:12], s[2:3]
	v_mov_b32_e32 v12, s4
	v_add_co_u32_e32 v11, vcc, s5, v6
	v_lshl_or_b32 v4, v14, 16, v4
	v_addc_co_u32_e32 v12, vcc, v7, v12, vcc
	global_store_dword v[11:12], v4, off
	v_and_or_b32 v4, v10, s6, v9
	v_cmp_ne_u32_e32 vcc, 0, v4
	v_cndmask_b32_e64 v4, 0, 1, vcc
	v_lshrrev_b32_e32 v6, 8, v10
	v_bfe_u32 v7, v10, 20, 11
	v_and_or_b32 v4, v6, s7, v4
	v_sub_u32_e32 v9, 0x3f1, v7
	v_or_b32_e32 v6, 0x1000, v4
	v_med3_i32 v9, v9, 0, 13
	v_lshrrev_b32_e32 v14, v9, v6
	v_lshlrev_b32_e32 v9, v9, v14
	v_mul_f16_sdwa v2, v60, v2 dst_sel:DWORD dst_unused:UNUSED_PAD src0_sel:WORD_1 src1_sel:DWORD
	v_cmp_ne_u32_e32 vcc, v9, v6
	v_fma_f16 v2, v60, v13, -v2
	v_cndmask_b32_e64 v6, 0, 1, vcc
	v_add_u32_e32 v9, 0xfffffc10, v7
	v_cvt_f32_f16_e32 v2, v2
	v_or_b32_e32 v6, v14, v6
	v_lshl_or_b32 v7, v9, 12, v4
	v_cmp_gt_i32_e32 vcc, 1, v9
	v_cndmask_b32_e32 v6, v7, v6, vcc
	v_and_b32_e32 v7, 7, v6
	v_cmp_lt_i32_e32 vcc, 5, v7
	v_cmp_eq_u32_e64 s[0:1], 3, v7
	v_lshrrev_b32_e32 v13, 2, v6
	v_cvt_f64_f32_e32 v[6:7], v2
	s_or_b64 vcc, s[0:1], vcc
	v_addc_co_u32_e32 v2, vcc, 0, v13, vcc
	v_mul_f64 v[13:14], v[6:7], s[2:3]
	v_cmp_gt_i32_e32 vcc, 31, v9
	v_cndmask_b32_e32 v2, v8, v2, vcc
	v_cmp_ne_u32_e32 vcc, 0, v4
	v_cndmask_b32_e64 v4, 0, 1, vcc
	v_lshl_or_b32 v4, v4, 9, v8
	v_cmp_eq_u32_e32 vcc, s10, v9
	v_cndmask_b32_e32 v2, v2, v4, vcc
	v_lshrrev_b32_e32 v4, 16, v10
	v_and_or_b32 v2, v4, s11, v2
	v_and_or_b32 v4, v14, s6, v13
	v_cmp_ne_u32_e32 vcc, 0, v4
	v_cndmask_b32_e64 v4, 0, 1, vcc
	v_lshrrev_b32_e32 v6, 8, v14
	v_bfe_u32 v7, v14, 20, 11
	v_and_or_b32 v4, v6, s7, v4
	v_sub_u32_e32 v9, 0x3f1, v7
	v_or_b32_e32 v6, 0x1000, v4
	v_med3_i32 v9, v9, 0, 13
	v_lshrrev_b32_e32 v10, v9, v6
	v_lshlrev_b32_e32 v9, v9, v10
	v_cmp_ne_u32_e32 vcc, v9, v6
	v_cndmask_b32_e64 v6, 0, 1, vcc
	v_add_u32_e32 v9, 0xfffffc10, v7
	v_or_b32_e32 v6, v10, v6
	v_lshl_or_b32 v7, v9, 12, v4
	v_cmp_gt_i32_e32 vcc, 1, v9
	v_cndmask_b32_e32 v6, v7, v6, vcc
	v_and_b32_e32 v7, 7, v6
	v_cmp_lt_i32_e32 vcc, 5, v7
	v_cmp_eq_u32_e64 s[0:1], 3, v7
	v_lshrrev_b32_e32 v6, 2, v6
	s_or_b64 vcc, s[0:1], vcc
	v_addc_co_u32_e32 v10, vcc, 0, v6, vcc
	ds_read2_b32 v[6:7], v64 offset0:92 offset1:217
	v_cmp_gt_i32_e32 vcc, 31, v9
	v_cndmask_b32_e32 v10, v8, v10, vcc
	v_cmp_ne_u32_e32 vcc, 0, v4
	v_cndmask_b32_e64 v4, 0, 1, vcc
	s_waitcnt lgkmcnt(0)
	v_lshrrev_b32_e32 v13, 16, v6
	v_mul_f16_sdwa v15, v58, v13 dst_sel:DWORD dst_unused:UNUSED_PAD src0_sel:WORD_1 src1_sel:DWORD
	v_fma_f16 v15, v58, v6, v15
	v_cvt_f32_f16_e32 v15, v15
	v_lshl_or_b32 v4, v4, 9, v8
	v_cmp_eq_u32_e32 vcc, s10, v9
	v_cndmask_b32_e32 v4, v10, v4, vcc
	v_cvt_f64_f32_e32 v[9:10], v15
	v_lshrrev_b32_e32 v14, 16, v14
	v_and_or_b32 v4, v14, s11, v4
	v_and_b32_e32 v2, 0xffff, v2
	v_mul_f64 v[9:10], v[9:10], s[2:3]
	v_lshl_or_b32 v2, v4, 16, v2
	v_mov_b32_e32 v4, s4
	v_add_co_u32_e32 v11, vcc, s5, v11
	v_addc_co_u32_e32 v12, vcc, v12, v4, vcc
	global_store_dword v[11:12], v2, off
	v_and_or_b32 v2, v10, s6, v9
	v_cmp_ne_u32_e32 vcc, 0, v2
	v_cndmask_b32_e64 v2, 0, 1, vcc
	v_lshrrev_b32_e32 v4, 8, v10
	v_bfe_u32 v9, v10, 20, 11
	v_and_or_b32 v2, v4, s7, v2
	v_sub_u32_e32 v14, 0x3f1, v9
	v_or_b32_e32 v4, 0x1000, v2
	v_med3_i32 v14, v14, 0, 13
	v_lshrrev_b32_e32 v15, v14, v4
	v_lshlrev_b32_e32 v14, v14, v15
	v_mul_f16_sdwa v6, v58, v6 dst_sel:DWORD dst_unused:UNUSED_PAD src0_sel:WORD_1 src1_sel:DWORD
	v_cmp_ne_u32_e32 vcc, v14, v4
	v_fma_f16 v6, v58, v13, -v6
	v_cndmask_b32_e64 v4, 0, 1, vcc
	v_add_u32_e32 v9, 0xfffffc10, v9
	v_cvt_f32_f16_e32 v6, v6
	v_or_b32_e32 v4, v15, v4
	v_lshl_or_b32 v14, v9, 12, v2
	v_cmp_gt_i32_e32 vcc, 1, v9
	v_cndmask_b32_e32 v4, v14, v4, vcc
	v_and_b32_e32 v14, 7, v4
	v_cmp_lt_i32_e32 vcc, 5, v14
	v_cmp_eq_u32_e64 s[0:1], 3, v14
	v_cvt_f64_f32_e32 v[13:14], v6
	v_lshrrev_b32_e32 v4, 2, v4
	s_or_b64 vcc, s[0:1], vcc
	v_addc_co_u32_e32 v4, vcc, 0, v4, vcc
	v_mul_f64 v[13:14], v[13:14], s[2:3]
	v_cmp_gt_i32_e32 vcc, 31, v9
	v_cndmask_b32_e32 v4, v8, v4, vcc
	v_cmp_ne_u32_e32 vcc, 0, v2
	v_cndmask_b32_e64 v2, 0, 1, vcc
	v_lshl_or_b32 v2, v2, 9, v8
	v_cmp_eq_u32_e32 vcc, s10, v9
	v_cndmask_b32_e32 v2, v4, v2, vcc
	v_lshrrev_b32_e32 v4, 16, v10
	v_and_or_b32 v2, v4, s11, v2
	v_and_or_b32 v4, v14, s6, v13
	v_cmp_ne_u32_e32 vcc, 0, v4
	v_cndmask_b32_e64 v4, 0, 1, vcc
	v_lshrrev_b32_e32 v6, 8, v14
	v_bfe_u32 v9, v14, 20, 11
	v_and_or_b32 v4, v6, s7, v4
	v_sub_u32_e32 v10, 0x3f1, v9
	v_or_b32_e32 v6, 0x1000, v4
	v_med3_i32 v10, v10, 0, 13
	v_lshrrev_b32_e32 v13, v10, v6
	v_lshlrev_b32_e32 v10, v10, v13
	v_cmp_ne_u32_e32 vcc, v10, v6
	v_cndmask_b32_e64 v6, 0, 1, vcc
	v_add_u32_e32 v9, 0xfffffc10, v9
	v_or_b32_e32 v6, v13, v6
	v_lshl_or_b32 v10, v9, 12, v4
	v_cmp_gt_i32_e32 vcc, 1, v9
	v_cndmask_b32_e32 v6, v10, v6, vcc
	v_and_b32_e32 v10, 7, v6
	v_lshrrev_b32_e32 v13, 16, v3
	v_cmp_lt_i32_e32 vcc, 5, v10
	v_cmp_eq_u32_e64 s[0:1], 3, v10
	v_mul_f16_sdwa v10, v56, v13 dst_sel:DWORD dst_unused:UNUSED_PAD src0_sel:WORD_1 src1_sel:DWORD
	v_fma_f16 v10, v56, v3, v10
	v_lshrrev_b32_e32 v6, 2, v6
	s_or_b64 vcc, s[0:1], vcc
	v_cvt_f32_f16_e32 v10, v10
	v_addc_co_u32_e32 v6, vcc, 0, v6, vcc
	v_cmp_gt_i32_e32 vcc, 31, v9
	v_cndmask_b32_e32 v6, v8, v6, vcc
	v_cmp_ne_u32_e32 vcc, 0, v4
	v_cndmask_b32_e64 v4, 0, 1, vcc
	v_cmp_eq_u32_e32 vcc, s10, v9
	v_cvt_f64_f32_e32 v[9:10], v10
	v_lshl_or_b32 v4, v4, 9, v8
	v_cndmask_b32_e32 v4, v6, v4, vcc
	v_lshrrev_b32_e32 v6, 16, v14
	v_mul_f64 v[9:10], v[9:10], s[2:3]
	v_and_or_b32 v4, v6, s11, v4
	v_and_b32_e32 v2, 0xffff, v2
	v_lshl_or_b32 v2, v4, 16, v2
	v_mov_b32_e32 v4, s4
	v_add_co_u32_e32 v11, vcc, s5, v11
	v_addc_co_u32_e32 v12, vcc, v12, v4, vcc
	global_store_dword v[11:12], v2, off
	v_and_or_b32 v2, v10, s6, v9
	v_cmp_ne_u32_e32 vcc, 0, v2
	v_cndmask_b32_e64 v2, 0, 1, vcc
	v_lshrrev_b32_e32 v4, 8, v10
	v_and_or_b32 v6, v4, s7, v2
	v_bfe_u32 v4, v10, 20, 11
	v_sub_u32_e32 v9, 0x3f1, v4
	v_or_b32_e32 v2, 0x1000, v6
	v_med3_i32 v9, v9, 0, 13
	v_lshrrev_b32_e32 v14, v9, v2
	v_lshlrev_b32_e32 v9, v9, v14
	v_mul_f16_sdwa v3, v56, v3 dst_sel:DWORD dst_unused:UNUSED_PAD src0_sel:WORD_1 src1_sel:DWORD
	v_cmp_ne_u32_e32 vcc, v9, v2
	v_fma_f16 v3, v56, v13, -v3
	v_cndmask_b32_e64 v2, 0, 1, vcc
	v_add_u32_e32 v9, 0xfffffc10, v4
	v_cvt_f32_f16_e32 v3, v3
	v_or_b32_e32 v2, v14, v2
	v_lshl_or_b32 v4, v9, 12, v6
	v_cmp_gt_i32_e32 vcc, 1, v9
	v_cndmask_b32_e32 v2, v4, v2, vcc
	v_and_b32_e32 v4, 7, v2
	v_cmp_lt_i32_e32 vcc, 5, v4
	v_cmp_eq_u32_e64 s[0:1], 3, v4
	v_lshrrev_b32_e32 v4, 2, v2
	v_cvt_f64_f32_e32 v[2:3], v3
	s_or_b64 vcc, s[0:1], vcc
	v_addc_co_u32_e32 v4, vcc, 0, v4, vcc
	v_cmp_gt_i32_e32 vcc, 31, v9
	v_cndmask_b32_e32 v13, v8, v4, vcc
	v_mul_f64 v[3:4], v[2:3], s[2:3]
	v_cmp_ne_u32_e32 vcc, 0, v6
	v_cndmask_b32_e64 v2, 0, 1, vcc
	v_lshl_or_b32 v2, v2, 9, v8
	v_cmp_eq_u32_e32 vcc, s10, v9
	v_cndmask_b32_e32 v2, v13, v2, vcc
	v_lshrrev_b32_e32 v6, 16, v10
	v_and_or_b32 v6, v6, s11, v2
	v_and_or_b32 v2, v4, s6, v3
	v_cmp_ne_u32_e32 vcc, 0, v2
	v_cndmask_b32_e64 v2, 0, 1, vcc
	v_lshrrev_b32_e32 v3, 8, v4
	v_and_or_b32 v9, v3, s7, v2
	v_bfe_u32 v3, v4, 20, 11
	v_sub_u32_e32 v10, 0x3f1, v3
	v_or_b32_e32 v2, 0x1000, v9
	v_med3_i32 v10, v10, 0, 13
	v_lshrrev_b32_e32 v13, v10, v2
	v_lshlrev_b32_e32 v10, v10, v13
	v_cmp_ne_u32_e32 vcc, v10, v2
	v_cndmask_b32_e64 v2, 0, 1, vcc
	v_add_u32_e32 v10, 0xfffffc10, v3
	v_or_b32_e32 v2, v13, v2
	v_lshl_or_b32 v3, v10, 12, v9
	v_cmp_gt_i32_e32 vcc, 1, v10
	v_cndmask_b32_e32 v2, v3, v2, vcc
	v_and_b32_e32 v3, 7, v2
	v_cmp_lt_i32_e32 vcc, 5, v3
	v_cmp_eq_u32_e64 s[0:1], 3, v3
	v_lshrrev_b32_e32 v2, 2, v2
	s_or_b64 vcc, s[0:1], vcc
	v_addc_co_u32_e32 v13, vcc, 0, v2, vcc
	ds_read2_b32 v[2:3], v59 offset0:116 offset1:241
	v_cmp_gt_i32_e32 vcc, 31, v10
	v_cndmask_b32_e32 v13, v8, v13, vcc
	v_cmp_ne_u32_e32 vcc, 0, v9
	v_cndmask_b32_e64 v9, 0, 1, vcc
	s_waitcnt lgkmcnt(0)
	v_lshrrev_b32_e32 v14, 16, v2
	v_mul_f16_sdwa v15, v55, v14 dst_sel:DWORD dst_unused:UNUSED_PAD src0_sel:WORD_1 src1_sel:DWORD
	v_fma_f16 v15, v55, v2, v15
	v_cvt_f32_f16_e32 v15, v15
	v_lshl_or_b32 v9, v9, 9, v8
	v_cmp_eq_u32_e32 vcc, s10, v10
	v_cndmask_b32_e32 v13, v13, v9, vcc
	v_cvt_f64_f32_e32 v[9:10], v15
	v_mad_u64_u32 v[11:12], s[0:1], s8, v48, v[11:12]
	v_lshrrev_b32_e32 v4, 16, v4
	v_mul_f64 v[9:10], v[9:10], s[2:3]
	s_mul_i32 s0, s9, 0xffffea84
	v_and_or_b32 v4, v4, s11, v13
	v_and_b32_e32 v6, 0xffff, v6
	s_sub_i32 s9, s0, s8
	v_lshl_or_b32 v4, v4, 16, v6
	v_add_u32_e32 v12, s9, v12
	global_store_dword v[11:12], v4, off
	v_and_or_b32 v4, v10, s6, v9
	v_cmp_ne_u32_e32 vcc, 0, v4
	v_cndmask_b32_e64 v4, 0, 1, vcc
	v_lshrrev_b32_e32 v6, 8, v10
	v_bfe_u32 v9, v10, 20, 11
	v_and_or_b32 v4, v6, s7, v4
	v_sub_u32_e32 v13, 0x3f1, v9
	v_or_b32_e32 v6, 0x1000, v4
	v_med3_i32 v13, v13, 0, 13
	v_lshrrev_b32_e32 v15, v13, v6
	v_lshlrev_b32_e32 v13, v13, v15
	v_mul_f16_sdwa v2, v55, v2 dst_sel:DWORD dst_unused:UNUSED_PAD src0_sel:WORD_1 src1_sel:DWORD
	v_cmp_ne_u32_e32 vcc, v13, v6
	v_fma_f16 v2, v55, v14, -v2
	v_cndmask_b32_e64 v6, 0, 1, vcc
	v_add_u32_e32 v9, 0xfffffc10, v9
	v_cvt_f32_f16_e32 v2, v2
	v_or_b32_e32 v6, v15, v6
	v_lshl_or_b32 v13, v9, 12, v4
	v_cmp_gt_i32_e32 vcc, 1, v9
	v_cndmask_b32_e32 v6, v13, v6, vcc
	v_and_b32_e32 v13, 7, v6
	v_cmp_lt_i32_e32 vcc, 5, v13
	v_cmp_eq_u32_e64 s[0:1], 3, v13
	v_cvt_f64_f32_e32 v[13:14], v2
	v_lshrrev_b32_e32 v6, 2, v6
	s_or_b64 vcc, s[0:1], vcc
	v_addc_co_u32_e32 v2, vcc, 0, v6, vcc
	v_mul_f64 v[13:14], v[13:14], s[2:3]
	v_cmp_gt_i32_e32 vcc, 31, v9
	v_cndmask_b32_e32 v2, v8, v2, vcc
	v_cmp_ne_u32_e32 vcc, 0, v4
	v_cndmask_b32_e64 v4, 0, 1, vcc
	v_lshl_or_b32 v4, v4, 9, v8
	v_cmp_eq_u32_e32 vcc, s10, v9
	v_cndmask_b32_e32 v2, v2, v4, vcc
	v_lshrrev_b32_e32 v4, 16, v10
	v_and_or_b32 v2, v4, s11, v2
	v_and_or_b32 v4, v14, s6, v13
	v_cmp_ne_u32_e32 vcc, 0, v4
	v_cndmask_b32_e64 v4, 0, 1, vcc
	v_lshrrev_b32_e32 v6, 8, v14
	v_bfe_u32 v9, v14, 20, 11
	v_and_or_b32 v4, v6, s7, v4
	v_sub_u32_e32 v10, 0x3f1, v9
	v_or_b32_e32 v6, 0x1000, v4
	v_med3_i32 v10, v10, 0, 13
	v_lshrrev_b32_e32 v13, v10, v6
	v_lshlrev_b32_e32 v10, v10, v13
	v_cmp_ne_u32_e32 vcc, v10, v6
	v_cndmask_b32_e64 v6, 0, 1, vcc
	v_add_u32_e32 v9, 0xfffffc10, v9
	v_or_b32_e32 v6, v13, v6
	v_lshl_or_b32 v10, v9, 12, v4
	v_cmp_gt_i32_e32 vcc, 1, v9
	v_cndmask_b32_e32 v6, v10, v6, vcc
	v_and_b32_e32 v10, 7, v6
	v_lshrrev_b32_e32 v13, 16, v5
	v_cmp_lt_i32_e32 vcc, 5, v10
	v_cmp_eq_u32_e64 s[0:1], 3, v10
	v_mul_f16_sdwa v10, v53, v13 dst_sel:DWORD dst_unused:UNUSED_PAD src0_sel:WORD_1 src1_sel:DWORD
	v_fma_f16 v10, v53, v5, v10
	v_lshrrev_b32_e32 v6, 2, v6
	s_or_b64 vcc, s[0:1], vcc
	v_cvt_f32_f16_e32 v10, v10
	v_addc_co_u32_e32 v6, vcc, 0, v6, vcc
	v_cmp_gt_i32_e32 vcc, 31, v9
	v_cndmask_b32_e32 v6, v8, v6, vcc
	v_cmp_ne_u32_e32 vcc, 0, v4
	v_cndmask_b32_e64 v4, 0, 1, vcc
	v_cmp_eq_u32_e32 vcc, s10, v9
	v_cvt_f64_f32_e32 v[9:10], v10
	v_lshl_or_b32 v4, v4, 9, v8
	v_cndmask_b32_e32 v4, v6, v4, vcc
	v_lshrrev_b32_e32 v6, 16, v14
	v_mul_f64 v[9:10], v[9:10], s[2:3]
	v_and_or_b32 v4, v6, s11, v4
	v_and_b32_e32 v2, 0xffff, v2
	v_lshl_or_b32 v2, v4, 16, v2
	v_mov_b32_e32 v4, s4
	v_add_co_u32_e32 v11, vcc, s5, v11
	v_addc_co_u32_e32 v12, vcc, v12, v4, vcc
	global_store_dword v[11:12], v2, off
	v_and_or_b32 v2, v10, s6, v9
	v_cmp_ne_u32_e32 vcc, 0, v2
	v_cndmask_b32_e64 v2, 0, 1, vcc
	v_lshrrev_b32_e32 v4, 8, v10
	v_bfe_u32 v6, v10, 20, 11
	v_and_or_b32 v2, v4, s7, v2
	v_sub_u32_e32 v9, 0x3f1, v6
	v_or_b32_e32 v4, 0x1000, v2
	v_med3_i32 v9, v9, 0, 13
	v_lshrrev_b32_e32 v14, v9, v4
	v_lshlrev_b32_e32 v9, v9, v14
	v_mul_f16_sdwa v5, v53, v5 dst_sel:DWORD dst_unused:UNUSED_PAD src0_sel:WORD_1 src1_sel:DWORD
	v_cmp_ne_u32_e32 vcc, v9, v4
	v_fma_f16 v5, v53, v13, -v5
	v_cndmask_b32_e64 v4, 0, 1, vcc
	v_add_u32_e32 v9, 0xfffffc10, v6
	v_cvt_f32_f16_e32 v5, v5
	v_or_b32_e32 v4, v14, v4
	v_lshl_or_b32 v6, v9, 12, v2
	v_cmp_gt_i32_e32 vcc, 1, v9
	v_cndmask_b32_e32 v4, v6, v4, vcc
	v_and_b32_e32 v6, 7, v4
	v_cmp_lt_i32_e32 vcc, 5, v6
	v_cmp_eq_u32_e64 s[0:1], 3, v6
	v_lshrrev_b32_e32 v6, 2, v4
	v_cvt_f64_f32_e32 v[4:5], v5
	s_or_b64 vcc, s[0:1], vcc
	v_addc_co_u32_e32 v6, vcc, 0, v6, vcc
	v_cmp_gt_i32_e32 vcc, 31, v9
	v_cndmask_b32_e32 v13, v8, v6, vcc
	v_mul_f64 v[5:6], v[4:5], s[2:3]
	v_cmp_ne_u32_e32 vcc, 0, v2
	v_cndmask_b32_e64 v2, 0, 1, vcc
	v_lshl_or_b32 v2, v2, 9, v8
	v_cmp_eq_u32_e32 vcc, s10, v9
	v_cndmask_b32_e32 v2, v13, v2, vcc
	v_lshrrev_b32_e32 v4, 16, v10
	v_and_or_b32 v2, v4, s11, v2
	v_and_or_b32 v4, v6, s6, v5
	v_cmp_ne_u32_e32 vcc, 0, v4
	v_cndmask_b32_e64 v4, 0, 1, vcc
	v_lshrrev_b32_e32 v5, 8, v6
	v_and_or_b32 v9, v5, s7, v4
	v_bfe_u32 v5, v6, 20, 11
	v_sub_u32_e32 v10, 0x3f1, v5
	v_or_b32_e32 v4, 0x1000, v9
	v_med3_i32 v10, v10, 0, 13
	v_lshrrev_b32_e32 v13, v10, v4
	v_lshlrev_b32_e32 v10, v10, v13
	v_cmp_ne_u32_e32 vcc, v10, v4
	v_cndmask_b32_e64 v4, 0, 1, vcc
	v_add_u32_e32 v10, 0xfffffc10, v5
	v_or_b32_e32 v4, v13, v4
	v_lshl_or_b32 v5, v10, 12, v9
	v_cmp_gt_i32_e32 vcc, 1, v10
	v_cndmask_b32_e32 v4, v5, v4, vcc
	v_and_b32_e32 v5, 7, v4
	v_cmp_lt_i32_e32 vcc, 5, v5
	v_cmp_eq_u32_e64 s[0:1], 3, v5
	v_lshrrev_b32_e32 v4, 2, v4
	s_or_b64 vcc, s[0:1], vcc
	v_addc_co_u32_e32 v13, vcc, 0, v4, vcc
	ds_read2_b32 v[4:5], v57 offset0:98 offset1:223
	v_cmp_gt_i32_e32 vcc, 31, v10
	v_cndmask_b32_e32 v13, v8, v13, vcc
	v_cmp_ne_u32_e32 vcc, 0, v9
	v_cndmask_b32_e64 v9, 0, 1, vcc
	s_waitcnt lgkmcnt(0)
	v_lshrrev_b32_e32 v14, 16, v4
	v_mul_f16_sdwa v15, v54, v14 dst_sel:DWORD dst_unused:UNUSED_PAD src0_sel:WORD_1 src1_sel:DWORD
	v_fma_f16 v15, v54, v4, v15
	v_cvt_f32_f16_e32 v15, v15
	v_lshl_or_b32 v9, v9, 9, v8
	v_cmp_eq_u32_e32 vcc, s10, v10
	v_cndmask_b32_e32 v13, v13, v9, vcc
	v_cvt_f64_f32_e32 v[9:10], v15
	v_lshrrev_b32_e32 v6, 16, v6
	v_and_or_b32 v6, v6, s11, v13
	v_and_b32_e32 v2, 0xffff, v2
	v_mul_f64 v[9:10], v[9:10], s[2:3]
	v_lshl_or_b32 v2, v6, 16, v2
	v_mov_b32_e32 v6, s4
	v_add_co_u32_e32 v11, vcc, s5, v11
	v_addc_co_u32_e32 v12, vcc, v12, v6, vcc
	global_store_dword v[11:12], v2, off
	v_and_or_b32 v2, v10, s6, v9
	v_cmp_ne_u32_e32 vcc, 0, v2
	v_cndmask_b32_e64 v2, 0, 1, vcc
	v_lshrrev_b32_e32 v6, 8, v10
	v_bfe_u32 v9, v10, 20, 11
	v_and_or_b32 v2, v6, s7, v2
	v_sub_u32_e32 v13, 0x3f1, v9
	v_or_b32_e32 v6, 0x1000, v2
	v_med3_i32 v13, v13, 0, 13
	v_lshrrev_b32_e32 v15, v13, v6
	v_lshlrev_b32_e32 v13, v13, v15
	v_mul_f16_sdwa v4, v54, v4 dst_sel:DWORD dst_unused:UNUSED_PAD src0_sel:WORD_1 src1_sel:DWORD
	v_cmp_ne_u32_e32 vcc, v13, v6
	v_fma_f16 v4, v54, v14, -v4
	v_cndmask_b32_e64 v6, 0, 1, vcc
	v_add_u32_e32 v9, 0xfffffc10, v9
	v_cvt_f32_f16_e32 v4, v4
	v_or_b32_e32 v6, v15, v6
	v_lshl_or_b32 v13, v9, 12, v2
	v_cmp_gt_i32_e32 vcc, 1, v9
	v_cndmask_b32_e32 v6, v13, v6, vcc
	v_and_b32_e32 v13, 7, v6
	v_cmp_lt_i32_e32 vcc, 5, v13
	v_cmp_eq_u32_e64 s[0:1], 3, v13
	v_cvt_f64_f32_e32 v[13:14], v4
	v_lshrrev_b32_e32 v6, 2, v6
	s_or_b64 vcc, s[0:1], vcc
	v_addc_co_u32_e32 v4, vcc, 0, v6, vcc
	v_mul_f64 v[13:14], v[13:14], s[2:3]
	v_cmp_gt_i32_e32 vcc, 31, v9
	v_cndmask_b32_e32 v4, v8, v4, vcc
	v_cmp_ne_u32_e32 vcc, 0, v2
	v_cndmask_b32_e64 v2, 0, 1, vcc
	v_lshl_or_b32 v2, v2, 9, v8
	v_cmp_eq_u32_e32 vcc, s10, v9
	v_cndmask_b32_e32 v2, v4, v2, vcc
	v_lshrrev_b32_e32 v4, 16, v10
	v_and_or_b32 v2, v4, s11, v2
	v_and_or_b32 v4, v14, s6, v13
	v_cmp_ne_u32_e32 vcc, 0, v4
	v_cndmask_b32_e64 v4, 0, 1, vcc
	v_lshrrev_b32_e32 v6, 8, v14
	v_bfe_u32 v9, v14, 20, 11
	v_and_or_b32 v4, v6, s7, v4
	v_sub_u32_e32 v10, 0x3f1, v9
	v_or_b32_e32 v6, 0x1000, v4
	v_med3_i32 v10, v10, 0, 13
	v_lshrrev_b32_e32 v13, v10, v6
	v_lshlrev_b32_e32 v10, v10, v13
	v_cmp_ne_u32_e32 vcc, v10, v6
	v_cndmask_b32_e64 v6, 0, 1, vcc
	v_add_u32_e32 v9, 0xfffffc10, v9
	v_or_b32_e32 v6, v13, v6
	v_lshl_or_b32 v10, v9, 12, v4
	v_cmp_gt_i32_e32 vcc, 1, v9
	v_cndmask_b32_e32 v6, v10, v6, vcc
	v_and_b32_e32 v10, 7, v6
	v_lshrrev_b32_e32 v13, 16, v7
	v_cmp_lt_i32_e32 vcc, 5, v10
	v_cmp_eq_u32_e64 s[0:1], 3, v10
	v_mul_f16_sdwa v10, v52, v13 dst_sel:DWORD dst_unused:UNUSED_PAD src0_sel:WORD_1 src1_sel:DWORD
	v_fma_f16 v10, v52, v7, v10
	v_lshrrev_b32_e32 v6, 2, v6
	s_or_b64 vcc, s[0:1], vcc
	v_cvt_f32_f16_e32 v10, v10
	v_addc_co_u32_e32 v6, vcc, 0, v6, vcc
	v_cmp_gt_i32_e32 vcc, 31, v9
	v_cndmask_b32_e32 v6, v8, v6, vcc
	v_cmp_ne_u32_e32 vcc, 0, v4
	v_cndmask_b32_e64 v4, 0, 1, vcc
	v_cmp_eq_u32_e32 vcc, s10, v9
	v_cvt_f64_f32_e32 v[9:10], v10
	v_lshl_or_b32 v4, v4, 9, v8
	v_cndmask_b32_e32 v4, v6, v4, vcc
	v_lshrrev_b32_e32 v6, 16, v14
	v_mul_f64 v[9:10], v[9:10], s[2:3]
	v_and_or_b32 v4, v6, s11, v4
	v_and_b32_e32 v2, 0xffff, v2
	v_lshl_or_b32 v2, v4, 16, v2
	v_mov_b32_e32 v4, s4
	v_add_co_u32_e32 v11, vcc, s5, v11
	v_addc_co_u32_e32 v12, vcc, v12, v4, vcc
	global_store_dword v[11:12], v2, off
	v_and_or_b32 v2, v10, s6, v9
	v_cmp_ne_u32_e32 vcc, 0, v2
	v_cndmask_b32_e64 v2, 0, 1, vcc
	v_lshrrev_b32_e32 v4, 8, v10
	v_bfe_u32 v6, v10, 20, 11
	v_and_or_b32 v2, v4, s7, v2
	v_sub_u32_e32 v9, 0x3f1, v6
	v_or_b32_e32 v4, 0x1000, v2
	v_med3_i32 v9, v9, 0, 13
	v_lshrrev_b32_e32 v14, v9, v4
	v_lshlrev_b32_e32 v9, v9, v14
	v_mul_f16_sdwa v7, v52, v7 dst_sel:DWORD dst_unused:UNUSED_PAD src0_sel:WORD_1 src1_sel:DWORD
	v_cmp_ne_u32_e32 vcc, v9, v4
	v_fma_f16 v7, v52, v13, -v7
	v_cndmask_b32_e64 v4, 0, 1, vcc
	v_add_u32_e32 v9, 0xfffffc10, v6
	v_cvt_f32_f16_e32 v7, v7
	v_or_b32_e32 v4, v14, v4
	v_lshl_or_b32 v6, v9, 12, v2
	v_cmp_gt_i32_e32 vcc, 1, v9
	v_cndmask_b32_e32 v4, v6, v4, vcc
	v_and_b32_e32 v6, 7, v4
	v_cmp_lt_i32_e32 vcc, 5, v6
	v_cmp_eq_u32_e64 s[0:1], 3, v6
	v_cvt_f64_f32_e32 v[6:7], v7
	v_lshrrev_b32_e32 v4, 2, v4
	s_or_b64 vcc, s[0:1], vcc
	v_addc_co_u32_e32 v4, vcc, 0, v4, vcc
	v_mul_f64 v[6:7], v[6:7], s[2:3]
	v_cmp_gt_i32_e32 vcc, 31, v9
	v_cndmask_b32_e32 v4, v8, v4, vcc
	v_cmp_ne_u32_e32 vcc, 0, v2
	v_cndmask_b32_e64 v2, 0, 1, vcc
	v_lshl_or_b32 v2, v2, 9, v8
	v_cmp_eq_u32_e32 vcc, s10, v9
	v_cndmask_b32_e32 v2, v4, v2, vcc
	v_lshrrev_b32_e32 v4, 16, v10
	v_and_or_b32 v2, v4, s11, v2
	v_and_or_b32 v4, v7, s6, v6
	v_cmp_ne_u32_e32 vcc, 0, v4
	v_cndmask_b32_e64 v4, 0, 1, vcc
	v_lshrrev_b32_e32 v6, 8, v7
	v_bfe_u32 v9, v7, 20, 11
	v_and_or_b32 v4, v6, s7, v4
	v_sub_u32_e32 v10, 0x3f1, v9
	v_or_b32_e32 v6, 0x1000, v4
	v_med3_i32 v10, v10, 0, 13
	v_lshrrev_b32_e32 v13, v10, v6
	v_lshlrev_b32_e32 v10, v10, v13
	v_cmp_ne_u32_e32 vcc, v10, v6
	v_cndmask_b32_e64 v6, 0, 1, vcc
	v_add_u32_e32 v9, 0xfffffc10, v9
	v_or_b32_e32 v6, v13, v6
	v_lshl_or_b32 v10, v9, 12, v4
	v_cmp_gt_i32_e32 vcc, 1, v9
	v_cndmask_b32_e32 v6, v10, v6, vcc
	v_and_b32_e32 v10, 7, v6
	v_lshrrev_b32_e32 v13, 16, v0
	v_cmp_lt_i32_e32 vcc, 5, v10
	v_cmp_eq_u32_e64 s[0:1], 3, v10
	v_mul_f16_sdwa v10, v51, v13 dst_sel:DWORD dst_unused:UNUSED_PAD src0_sel:WORD_1 src1_sel:DWORD
	v_fma_f16 v10, v51, v0, v10
	v_lshrrev_b32_e32 v6, 2, v6
	s_or_b64 vcc, s[0:1], vcc
	v_cvt_f32_f16_e32 v10, v10
	v_addc_co_u32_e32 v6, vcc, 0, v6, vcc
	v_cmp_gt_i32_e32 vcc, 31, v9
	v_cndmask_b32_e32 v6, v8, v6, vcc
	v_cmp_ne_u32_e32 vcc, 0, v4
	v_cndmask_b32_e64 v4, 0, 1, vcc
	v_cmp_eq_u32_e32 vcc, s10, v9
	v_cvt_f64_f32_e32 v[9:10], v10
	v_lshl_or_b32 v4, v4, 9, v8
	v_cndmask_b32_e32 v4, v6, v4, vcc
	v_lshrrev_b32_e32 v6, 16, v7
	v_and_or_b32 v4, v6, s11, v4
	v_mul_f64 v[6:7], v[9:10], s[2:3]
	v_and_b32_e32 v2, 0xffff, v2
	v_lshl_or_b32 v2, v4, 16, v2
	v_mov_b32_e32 v4, s4
	v_add_co_u32_e32 v9, vcc, s5, v11
	v_addc_co_u32_e32 v10, vcc, v12, v4, vcc
	global_store_dword v[9:10], v2, off
	v_and_or_b32 v2, v7, s6, v6
	v_cmp_ne_u32_e32 vcc, 0, v2
	v_cndmask_b32_e64 v2, 0, 1, vcc
	v_lshrrev_b32_e32 v4, 8, v7
	v_bfe_u32 v6, v7, 20, 11
	v_and_or_b32 v2, v4, s7, v2
	v_sub_u32_e32 v11, 0x3f1, v6
	v_or_b32_e32 v4, 0x1000, v2
	v_med3_i32 v11, v11, 0, 13
	v_lshrrev_b32_e32 v12, v11, v4
	v_lshlrev_b32_e32 v11, v11, v12
	v_mul_f16_sdwa v0, v51, v0 dst_sel:DWORD dst_unused:UNUSED_PAD src0_sel:WORD_1 src1_sel:DWORD
	v_cmp_ne_u32_e32 vcc, v11, v4
	v_fma_f16 v0, v51, v13, -v0
	v_cndmask_b32_e64 v4, 0, 1, vcc
	v_add_u32_e32 v6, 0xfffffc10, v6
	v_cvt_f32_f16_e32 v0, v0
	v_or_b32_e32 v4, v12, v4
	v_lshl_or_b32 v11, v6, 12, v2
	v_cmp_gt_i32_e32 vcc, 1, v6
	v_cndmask_b32_e32 v4, v11, v4, vcc
	v_and_b32_e32 v11, 7, v4
	v_cmp_lt_i32_e32 vcc, 5, v11
	v_cmp_eq_u32_e64 s[0:1], 3, v11
	v_cvt_f64_f32_e32 v[11:12], v0
	v_lshrrev_b32_e32 v4, 2, v4
	s_or_b64 vcc, s[0:1], vcc
	v_addc_co_u32_e32 v0, vcc, 0, v4, vcc
	v_mul_f64 v[11:12], v[11:12], s[2:3]
	v_cmp_gt_i32_e32 vcc, 31, v6
	v_cndmask_b32_e32 v0, v8, v0, vcc
	v_cmp_ne_u32_e32 vcc, 0, v2
	v_cndmask_b32_e64 v2, 0, 1, vcc
	v_lshl_or_b32 v2, v2, 9, v8
	v_cmp_eq_u32_e32 vcc, s10, v6
	v_cndmask_b32_e32 v0, v0, v2, vcc
	v_lshrrev_b32_e32 v2, 16, v7
	v_and_or_b32 v0, v2, s11, v0
	v_and_or_b32 v2, v12, s6, v11
	v_cmp_ne_u32_e32 vcc, 0, v2
	v_cndmask_b32_e64 v2, 0, 1, vcc
	v_lshrrev_b32_e32 v4, 8, v12
	v_bfe_u32 v6, v12, 20, 11
	v_and_or_b32 v2, v4, s7, v2
	v_sub_u32_e32 v7, 0x3f1, v6
	v_or_b32_e32 v4, 0x1000, v2
	v_med3_i32 v7, v7, 0, 13
	v_lshrrev_b32_e32 v11, v7, v4
	v_lshlrev_b32_e32 v7, v7, v11
	v_cmp_ne_u32_e32 vcc, v7, v4
	v_cndmask_b32_e64 v4, 0, 1, vcc
	v_or_b32_e32 v4, v11, v4
	v_add_u32_e32 v11, 0xfffffc10, v6
	v_lshl_or_b32 v6, v11, 12, v2
	v_cmp_gt_i32_e32 vcc, 1, v11
	v_cndmask_b32_e32 v4, v6, v4, vcc
	v_and_b32_e32 v6, 7, v4
	v_lshrrev_b32_e32 v13, 16, v3
	v_cmp_lt_i32_e32 vcc, 5, v6
	v_cmp_eq_u32_e64 s[0:1], 3, v6
	v_mul_f16_sdwa v6, v50, v13 dst_sel:DWORD dst_unused:UNUSED_PAD src0_sel:WORD_1 src1_sel:DWORD
	v_fma_f16 v6, v50, v3, v6
	v_cvt_f32_f16_e32 v6, v6
	v_lshrrev_b32_e32 v4, 2, v4
	s_or_b64 vcc, s[0:1], vcc
	v_addc_co_u32_e32 v4, vcc, 0, v4, vcc
	v_cvt_f64_f32_e32 v[6:7], v6
	v_cmp_gt_i32_e32 vcc, 31, v11
	v_cndmask_b32_e32 v4, v8, v4, vcc
	v_cmp_ne_u32_e32 vcc, 0, v2
	v_mul_f64 v[6:7], v[6:7], s[2:3]
	v_cndmask_b32_e64 v2, 0, 1, vcc
	v_mad_u64_u32 v[9:10], s[0:1], s8, v48, v[9:10]
	v_lshl_or_b32 v2, v2, 9, v8
	v_cmp_eq_u32_e32 vcc, s10, v11
	v_cndmask_b32_e32 v2, v4, v2, vcc
	v_lshrrev_b32_e32 v4, 16, v12
	v_and_or_b32 v2, v4, s11, v2
	v_and_b32_e32 v0, 0xffff, v0
	v_lshl_or_b32 v0, v2, 16, v0
	v_add_u32_e32 v10, s9, v10
	global_store_dword v[9:10], v0, off
	v_and_or_b32 v0, v7, s6, v6
	v_cmp_ne_u32_e32 vcc, 0, v0
	v_cndmask_b32_e64 v0, 0, 1, vcc
	v_lshrrev_b32_e32 v2, 8, v7
	v_bfe_u32 v4, v7, 20, 11
	v_and_or_b32 v0, v2, s7, v0
	v_sub_u32_e32 v6, 0x3f1, v4
	v_or_b32_e32 v2, 0x1000, v0
	v_med3_i32 v6, v6, 0, 13
	v_lshrrev_b32_e32 v11, v6, v2
	v_lshlrev_b32_e32 v6, v6, v11
	v_mul_f16_sdwa v3, v50, v3 dst_sel:DWORD dst_unused:UNUSED_PAD src0_sel:WORD_1 src1_sel:DWORD
	v_cmp_ne_u32_e32 vcc, v6, v2
	v_fma_f16 v3, v50, v13, -v3
	v_cndmask_b32_e64 v2, 0, 1, vcc
	v_add_u32_e32 v4, 0xfffffc10, v4
	v_cvt_f32_f16_e32 v3, v3
	v_or_b32_e32 v2, v11, v2
	v_lshl_or_b32 v6, v4, 12, v0
	v_cmp_gt_i32_e32 vcc, 1, v4
	v_cndmask_b32_e32 v2, v6, v2, vcc
	v_and_b32_e32 v6, 7, v2
	v_cmp_lt_i32_e32 vcc, 5, v6
	v_cmp_eq_u32_e64 s[0:1], 3, v6
	v_lshrrev_b32_e32 v6, 2, v2
	v_cvt_f64_f32_e32 v[2:3], v3
	s_or_b64 vcc, s[0:1], vcc
	v_addc_co_u32_e32 v6, vcc, 0, v6, vcc
	v_mul_f64 v[2:3], v[2:3], s[2:3]
	v_cmp_gt_i32_e32 vcc, 31, v4
	v_cndmask_b32_e32 v6, v8, v6, vcc
	v_cmp_ne_u32_e32 vcc, 0, v0
	v_cndmask_b32_e64 v0, 0, 1, vcc
	v_lshl_or_b32 v0, v0, 9, v8
	v_cmp_eq_u32_e32 vcc, s10, v4
	v_cndmask_b32_e32 v0, v6, v0, vcc
	v_and_or_b32 v2, v3, s6, v2
	v_lshrrev_b32_e32 v4, 16, v7
	v_cmp_ne_u32_e32 vcc, 0, v2
	v_and_or_b32 v0, v4, s11, v0
	v_cndmask_b32_e64 v2, 0, 1, vcc
	v_lshrrev_b32_e32 v4, 8, v3
	v_bfe_u32 v6, v3, 20, 11
	v_and_or_b32 v2, v4, s7, v2
	v_sub_u32_e32 v7, 0x3f1, v6
	v_or_b32_e32 v4, 0x1000, v2
	v_med3_i32 v7, v7, 0, 13
	v_lshrrev_b32_e32 v11, v7, v4
	v_lshlrev_b32_e32 v7, v7, v11
	v_cmp_ne_u32_e32 vcc, v7, v4
	v_cndmask_b32_e64 v4, 0, 1, vcc
	v_add_u32_e32 v6, 0xfffffc10, v6
	v_or_b32_e32 v4, v11, v4
	v_lshl_or_b32 v7, v6, 12, v2
	v_cmp_gt_i32_e32 vcc, 1, v6
	v_cndmask_b32_e32 v4, v7, v4, vcc
	v_and_b32_e32 v7, 7, v4
	v_lshrrev_b32_e32 v11, 16, v1
	v_cmp_lt_i32_e32 vcc, 5, v7
	v_cmp_eq_u32_e64 s[0:1], 3, v7
	v_mul_f16_sdwa v7, v49, v11 dst_sel:DWORD dst_unused:UNUSED_PAD src0_sel:WORD_1 src1_sel:DWORD
	v_fma_f16 v7, v49, v1, v7
	v_lshrrev_b32_e32 v4, 2, v4
	s_or_b64 vcc, s[0:1], vcc
	v_cvt_f32_f16_e32 v7, v7
	v_addc_co_u32_e32 v4, vcc, 0, v4, vcc
	v_cmp_gt_i32_e32 vcc, 31, v6
	v_cndmask_b32_e32 v4, v8, v4, vcc
	v_cmp_ne_u32_e32 vcc, 0, v2
	v_cndmask_b32_e64 v2, 0, 1, vcc
	v_cmp_eq_u32_e32 vcc, s10, v6
	v_cvt_f64_f32_e32 v[6:7], v7
	v_lshl_or_b32 v2, v2, 9, v8
	v_cndmask_b32_e32 v2, v4, v2, vcc
	v_lshrrev_b32_e32 v3, 16, v3
	v_and_or_b32 v4, v3, s11, v2
	v_mul_f64 v[2:3], v[6:7], s[2:3]
	v_and_b32_e32 v0, 0xffff, v0
	v_lshl_or_b32 v0, v4, 16, v0
	v_mov_b32_e32 v4, s4
	v_add_co_u32_e32 v6, vcc, s5, v9
	v_addc_co_u32_e32 v7, vcc, v10, v4, vcc
	global_store_dword v[6:7], v0, off
	v_and_or_b32 v0, v3, s6, v2
	v_cmp_ne_u32_e32 vcc, 0, v0
	v_cndmask_b32_e64 v0, 0, 1, vcc
	v_lshrrev_b32_e32 v2, 8, v3
	v_bfe_u32 v4, v3, 20, 11
	v_and_or_b32 v2, v2, s7, v0
	v_sub_u32_e32 v9, 0x3f1, v4
	v_or_b32_e32 v0, 0x1000, v2
	v_med3_i32 v9, v9, 0, 13
	v_lshrrev_b32_e32 v10, v9, v0
	v_lshlrev_b32_e32 v9, v9, v10
	v_mul_f16_sdwa v1, v49, v1 dst_sel:DWORD dst_unused:UNUSED_PAD src0_sel:WORD_1 src1_sel:DWORD
	v_cmp_ne_u32_e32 vcc, v9, v0
	v_fma_f16 v1, v49, v11, -v1
	v_cndmask_b32_e64 v0, 0, 1, vcc
	v_add_u32_e32 v4, 0xfffffc10, v4
	v_cvt_f32_f16_e32 v1, v1
	v_or_b32_e32 v0, v10, v0
	v_lshl_or_b32 v9, v4, 12, v2
	v_cmp_gt_i32_e32 vcc, 1, v4
	v_cndmask_b32_e32 v0, v9, v0, vcc
	v_and_b32_e32 v9, 7, v0
	v_cmp_lt_i32_e32 vcc, 5, v9
	v_cmp_eq_u32_e64 s[0:1], 3, v9
	v_lshrrev_b32_e32 v9, 2, v0
	v_cvt_f64_f32_e32 v[0:1], v1
	s_or_b64 vcc, s[0:1], vcc
	v_addc_co_u32_e32 v9, vcc, 0, v9, vcc
	v_mul_f64 v[0:1], v[0:1], s[2:3]
	v_cmp_gt_i32_e32 vcc, 31, v4
	v_cndmask_b32_e32 v9, v8, v9, vcc
	v_cmp_ne_u32_e32 vcc, 0, v2
	v_cndmask_b32_e64 v2, 0, 1, vcc
	v_lshl_or_b32 v2, v2, 9, v8
	v_cmp_eq_u32_e32 vcc, s10, v4
	v_cndmask_b32_e32 v2, v9, v2, vcc
	v_and_or_b32 v0, v1, s6, v0
	v_lshrrev_b32_e32 v3, 16, v3
	v_cmp_ne_u32_e32 vcc, 0, v0
	v_and_or_b32 v4, v3, s11, v2
	v_cndmask_b32_e64 v0, 0, 1, vcc
	v_lshrrev_b32_e32 v2, 8, v1
	v_bfe_u32 v3, v1, 20, 11
	v_and_or_b32 v0, v2, s7, v0
	v_sub_u32_e32 v9, 0x3f1, v3
	v_or_b32_e32 v2, 0x1000, v0
	v_med3_i32 v9, v9, 0, 13
	v_lshrrev_b32_e32 v10, v9, v2
	v_lshlrev_b32_e32 v9, v9, v10
	v_cmp_ne_u32_e32 vcc, v9, v2
	v_cndmask_b32_e64 v2, 0, 1, vcc
	v_add_u32_e32 v3, 0xfffffc10, v3
	v_or_b32_e32 v2, v10, v2
	v_lshl_or_b32 v9, v3, 12, v0
	v_cmp_gt_i32_e32 vcc, 1, v3
	v_cndmask_b32_e32 v2, v9, v2, vcc
	v_and_b32_e32 v9, 7, v2
	v_cmp_lt_i32_e32 vcc, 5, v9
	v_cmp_eq_u32_e64 s[0:1], 3, v9
	v_lshrrev_b32_e32 v9, 16, v5
	v_lshrrev_b32_e32 v2, 2, v2
	s_or_b64 vcc, s[0:1], vcc
	v_mul_f16_sdwa v10, v47, v9 dst_sel:DWORD dst_unused:UNUSED_PAD src0_sel:WORD_1 src1_sel:DWORD
	v_addc_co_u32_e32 v2, vcc, 0, v2, vcc
	v_fma_f16 v10, v47, v5, v10
	v_cmp_gt_i32_e32 vcc, 31, v3
	v_cvt_f32_f16_e32 v10, v10
	v_cndmask_b32_e32 v2, v8, v2, vcc
	v_cmp_ne_u32_e32 vcc, 0, v0
	v_cndmask_b32_e64 v0, 0, 1, vcc
	v_lshl_or_b32 v0, v0, 9, v8
	v_cmp_eq_u32_e32 vcc, s10, v3
	v_cndmask_b32_e32 v0, v2, v0, vcc
	v_cvt_f64_f32_e32 v[2:3], v10
	v_lshrrev_b32_e32 v1, 16, v1
	v_and_or_b32 v10, v1, s11, v0
	v_and_b32_e32 v4, 0xffff, v4
	v_mul_f64 v[0:1], v[2:3], s[2:3]
	v_mov_b32_e32 v3, s4
	v_add_co_u32_e32 v2, vcc, s5, v6
	v_addc_co_u32_e32 v3, vcc, v7, v3, vcc
	v_lshl_or_b32 v4, v10, 16, v4
	global_store_dword v[2:3], v4, off
	v_and_or_b32 v0, v1, s6, v0
	v_cmp_ne_u32_e32 vcc, 0, v0
	v_cndmask_b32_e64 v0, 0, 1, vcc
	v_lshrrev_b32_e32 v4, 8, v1
	v_bfe_u32 v6, v1, 20, 11
	v_and_or_b32 v0, v4, s7, v0
	v_sub_u32_e32 v7, 0x3f1, v6
	v_or_b32_e32 v4, 0x1000, v0
	v_med3_i32 v7, v7, 0, 13
	v_lshrrev_b32_e32 v10, v7, v4
	v_lshlrev_b32_e32 v7, v7, v10
	v_mul_f16_sdwa v5, v47, v5 dst_sel:DWORD dst_unused:UNUSED_PAD src0_sel:WORD_1 src1_sel:DWORD
	v_cmp_ne_u32_e32 vcc, v7, v4
	v_fma_f16 v5, v47, v9, -v5
	v_cndmask_b32_e64 v4, 0, 1, vcc
	v_add_u32_e32 v6, 0xfffffc10, v6
	v_cvt_f32_f16_e32 v5, v5
	v_or_b32_e32 v4, v10, v4
	v_lshl_or_b32 v7, v6, 12, v0
	v_cmp_gt_i32_e32 vcc, 1, v6
	v_cndmask_b32_e32 v4, v7, v4, vcc
	v_and_b32_e32 v7, 7, v4
	v_cmp_lt_i32_e32 vcc, 5, v7
	v_cmp_eq_u32_e64 s[0:1], 3, v7
	v_lshrrev_b32_e32 v7, 2, v4
	v_cvt_f64_f32_e32 v[4:5], v5
	s_or_b64 vcc, s[0:1], vcc
	v_addc_co_u32_e32 v7, vcc, 0, v7, vcc
	v_mul_f64 v[4:5], v[4:5], s[2:3]
	v_cmp_gt_i32_e32 vcc, 31, v6
	v_cndmask_b32_e32 v7, v8, v7, vcc
	v_cmp_ne_u32_e32 vcc, 0, v0
	v_cndmask_b32_e64 v0, 0, 1, vcc
	v_lshl_or_b32 v0, v0, 9, v8
	v_cmp_eq_u32_e32 vcc, s10, v6
	v_cndmask_b32_e32 v0, v7, v0, vcc
	v_lshrrev_b32_e32 v1, 16, v1
	v_and_or_b32 v6, v1, s11, v0
	v_and_or_b32 v0, v5, s6, v4
	v_cmp_ne_u32_e32 vcc, 0, v0
	v_cndmask_b32_e64 v0, 0, 1, vcc
	v_lshrrev_b32_e32 v1, 8, v5
	v_bfe_u32 v4, v5, 20, 11
	v_and_or_b32 v0, v1, s7, v0
	v_sub_u32_e32 v7, 0x3f1, v4
	v_or_b32_e32 v1, 0x1000, v0
	v_med3_i32 v7, v7, 0, 13
	v_lshrrev_b32_e32 v9, v7, v1
	v_lshlrev_b32_e32 v7, v7, v9
	v_cmp_ne_u32_e32 vcc, v7, v1
	v_cndmask_b32_e64 v1, 0, 1, vcc
	v_add_u32_e32 v4, 0xfffffc10, v4
	v_or_b32_e32 v1, v9, v1
	v_lshl_or_b32 v7, v4, 12, v0
	v_cmp_gt_i32_e32 vcc, 1, v4
	v_cndmask_b32_e32 v1, v7, v1, vcc
	v_and_b32_e32 v7, 7, v1
	v_cmp_lt_i32_e32 vcc, 5, v7
	v_cmp_eq_u32_e64 s[0:1], 3, v7
	ds_read_b32 v7, v45 offset:7000
	v_lshrrev_b32_e32 v1, 2, v1
	s_or_b64 vcc, s[0:1], vcc
	v_addc_co_u32_e32 v1, vcc, 0, v1, vcc
	s_waitcnt lgkmcnt(0)
	v_lshrrev_b32_e32 v9, 16, v7
	v_mul_f16_sdwa v10, v46, v9 dst_sel:DWORD dst_unused:UNUSED_PAD src0_sel:WORD_1 src1_sel:DWORD
	v_fma_f16 v10, v46, v7, v10
	v_cmp_gt_i32_e32 vcc, 31, v4
	v_cvt_f32_f16_e32 v10, v10
	v_cndmask_b32_e32 v1, v8, v1, vcc
	v_cmp_ne_u32_e32 vcc, 0, v0
	v_cndmask_b32_e64 v0, 0, 1, vcc
	v_lshl_or_b32 v0, v0, 9, v8
	v_cmp_eq_u32_e32 vcc, s10, v4
	v_cndmask_b32_e32 v4, v1, v0, vcc
	v_cvt_f64_f32_e32 v[0:1], v10
	v_lshrrev_b32_e32 v5, 16, v5
	v_and_or_b32 v4, v5, s11, v4
	v_and_b32_e32 v5, 0xffff, v6
	v_mul_f64 v[0:1], v[0:1], s[2:3]
	v_lshl_or_b32 v4, v4, 16, v5
	v_mov_b32_e32 v5, s4
	v_add_co_u32_e32 v2, vcc, s5, v2
	v_addc_co_u32_e32 v3, vcc, v3, v5, vcc
	global_store_dword v[2:3], v4, off
	v_and_or_b32 v0, v1, s6, v0
	v_cmp_ne_u32_e32 vcc, 0, v0
	v_cndmask_b32_e64 v0, 0, 1, vcc
	v_lshrrev_b32_e32 v4, 8, v1
	v_bfe_u32 v5, v1, 20, 11
	v_and_or_b32 v0, v4, s7, v0
	v_sub_u32_e32 v6, 0x3f1, v5
	v_or_b32_e32 v4, 0x1000, v0
	v_med3_i32 v6, v6, 0, 13
	v_lshrrev_b32_e32 v10, v6, v4
	v_lshlrev_b32_e32 v6, v6, v10
	v_mul_f16_sdwa v7, v46, v7 dst_sel:DWORD dst_unused:UNUSED_PAD src0_sel:WORD_1 src1_sel:DWORD
	v_cmp_ne_u32_e32 vcc, v6, v4
	v_fma_f16 v7, v46, v9, -v7
	v_cndmask_b32_e64 v4, 0, 1, vcc
	v_add_u32_e32 v6, 0xfffffc10, v5
	v_cvt_f32_f16_e32 v7, v7
	v_or_b32_e32 v4, v10, v4
	v_lshl_or_b32 v5, v6, 12, v0
	v_cmp_gt_i32_e32 vcc, 1, v6
	v_cndmask_b32_e32 v4, v5, v4, vcc
	v_and_b32_e32 v5, 7, v4
	v_cmp_lt_i32_e32 vcc, 5, v5
	v_cmp_eq_u32_e64 s[0:1], 3, v5
	v_lshrrev_b32_e32 v9, 2, v4
	v_cvt_f64_f32_e32 v[4:5], v7
	s_or_b64 vcc, s[0:1], vcc
	v_addc_co_u32_e32 v7, vcc, 0, v9, vcc
	v_mul_f64 v[4:5], v[4:5], s[2:3]
	v_cmp_gt_i32_e32 vcc, 31, v6
	v_cndmask_b32_e32 v7, v8, v7, vcc
	v_cmp_ne_u32_e32 vcc, 0, v0
	v_cndmask_b32_e64 v0, 0, 1, vcc
	v_lshl_or_b32 v0, v0, 9, v8
	v_cmp_eq_u32_e32 vcc, s10, v6
	v_cndmask_b32_e32 v0, v7, v0, vcc
	v_lshrrev_b32_e32 v1, 16, v1
	v_and_or_b32 v0, v1, s11, v0
	v_and_or_b32 v1, v5, s6, v4
	v_cmp_ne_u32_e32 vcc, 0, v1
	v_cndmask_b32_e64 v1, 0, 1, vcc
	v_lshrrev_b32_e32 v4, 8, v5
	v_bfe_u32 v6, v5, 20, 11
	v_and_or_b32 v1, v4, s7, v1
	v_sub_u32_e32 v7, 0x3f1, v6
	v_or_b32_e32 v4, 0x1000, v1
	v_med3_i32 v7, v7, 0, 13
	v_lshrrev_b32_e32 v9, v7, v4
	v_lshlrev_b32_e32 v7, v7, v9
	v_cmp_ne_u32_e32 vcc, v7, v4
	v_cndmask_b32_e64 v4, 0, 1, vcc
	v_add_u32_e32 v6, 0xfffffc10, v6
	v_or_b32_e32 v4, v9, v4
	v_lshl_or_b32 v7, v6, 12, v1
	v_cmp_gt_i32_e32 vcc, 1, v6
	v_cndmask_b32_e32 v4, v7, v4, vcc
	v_and_b32_e32 v7, 7, v4
	v_cmp_lt_i32_e32 vcc, 5, v7
	v_cmp_eq_u32_e64 s[0:1], 3, v7
	v_lshrrev_b32_e32 v4, 2, v4
	s_or_b64 vcc, s[0:1], vcc
	v_addc_co_u32_e32 v4, vcc, 0, v4, vcc
	v_cmp_gt_i32_e32 vcc, 31, v6
	v_cndmask_b32_e32 v4, v8, v4, vcc
	v_cmp_ne_u32_e32 vcc, 0, v1
	v_cndmask_b32_e64 v1, 0, 1, vcc
	v_lshl_or_b32 v1, v1, 9, v8
	v_cmp_eq_u32_e32 vcc, s10, v6
	v_cndmask_b32_e32 v1, v4, v1, vcc
	v_lshrrev_b32_e32 v4, 16, v5
	v_and_or_b32 v1, v4, s11, v1
	v_and_b32_e32 v0, 0xffff, v0
	v_lshl_or_b32 v4, v1, 16, v0
	v_mov_b32_e32 v1, s4
	v_add_co_u32_e32 v0, vcc, s5, v2
	v_addc_co_u32_e32 v1, vcc, v3, v1, vcc
	global_store_dword v[0:1], v4, off
.LBB0_2:
	s_endpgm
	.section	.rodata,"a",@progbits
	.p2align	6, 0x0
	.amdhsa_kernel bluestein_single_fwd_len1875_dim1_half_op_CI_CI
		.amdhsa_group_segment_fixed_size 15000
		.amdhsa_private_segment_fixed_size 0
		.amdhsa_kernarg_size 104
		.amdhsa_user_sgpr_count 6
		.amdhsa_user_sgpr_private_segment_buffer 1
		.amdhsa_user_sgpr_dispatch_ptr 0
		.amdhsa_user_sgpr_queue_ptr 0
		.amdhsa_user_sgpr_kernarg_segment_ptr 1
		.amdhsa_user_sgpr_dispatch_id 0
		.amdhsa_user_sgpr_flat_scratch_init 0
		.amdhsa_user_sgpr_private_segment_size 0
		.amdhsa_uses_dynamic_stack 0
		.amdhsa_system_sgpr_private_segment_wavefront_offset 0
		.amdhsa_system_sgpr_workgroup_id_x 1
		.amdhsa_system_sgpr_workgroup_id_y 0
		.amdhsa_system_sgpr_workgroup_id_z 0
		.amdhsa_system_sgpr_workgroup_info 0
		.amdhsa_system_vgpr_workitem_id 0
		.amdhsa_next_free_vgpr 106
		.amdhsa_next_free_sgpr 20
		.amdhsa_reserve_vcc 1
		.amdhsa_reserve_flat_scratch 0
		.amdhsa_float_round_mode_32 0
		.amdhsa_float_round_mode_16_64 0
		.amdhsa_float_denorm_mode_32 3
		.amdhsa_float_denorm_mode_16_64 3
		.amdhsa_dx10_clamp 1
		.amdhsa_ieee_mode 1
		.amdhsa_fp16_overflow 0
		.amdhsa_exception_fp_ieee_invalid_op 0
		.amdhsa_exception_fp_denorm_src 0
		.amdhsa_exception_fp_ieee_div_zero 0
		.amdhsa_exception_fp_ieee_overflow 0
		.amdhsa_exception_fp_ieee_underflow 0
		.amdhsa_exception_fp_ieee_inexact 0
		.amdhsa_exception_int_div_zero 0
	.end_amdhsa_kernel
	.text
.Lfunc_end0:
	.size	bluestein_single_fwd_len1875_dim1_half_op_CI_CI, .Lfunc_end0-bluestein_single_fwd_len1875_dim1_half_op_CI_CI
                                        ; -- End function
	.section	.AMDGPU.csdata,"",@progbits
; Kernel info:
; codeLenInByte = 25448
; NumSgprs: 24
; NumVgprs: 106
; ScratchSize: 0
; MemoryBound: 0
; FloatMode: 240
; IeeeMode: 1
; LDSByteSize: 15000 bytes/workgroup (compile time only)
; SGPRBlocks: 2
; VGPRBlocks: 26
; NumSGPRsForWavesPerEU: 24
; NumVGPRsForWavesPerEU: 106
; Occupancy: 2
; WaveLimiterHint : 1
; COMPUTE_PGM_RSRC2:SCRATCH_EN: 0
; COMPUTE_PGM_RSRC2:USER_SGPR: 6
; COMPUTE_PGM_RSRC2:TRAP_HANDLER: 0
; COMPUTE_PGM_RSRC2:TGID_X_EN: 1
; COMPUTE_PGM_RSRC2:TGID_Y_EN: 0
; COMPUTE_PGM_RSRC2:TGID_Z_EN: 0
; COMPUTE_PGM_RSRC2:TIDIG_COMP_CNT: 0
	.type	__hip_cuid_98741c16cb48d939,@object ; @__hip_cuid_98741c16cb48d939
	.section	.bss,"aw",@nobits
	.globl	__hip_cuid_98741c16cb48d939
__hip_cuid_98741c16cb48d939:
	.byte	0                               ; 0x0
	.size	__hip_cuid_98741c16cb48d939, 1

	.ident	"AMD clang version 19.0.0git (https://github.com/RadeonOpenCompute/llvm-project roc-6.4.0 25133 c7fe45cf4b819c5991fe208aaa96edf142730f1d)"
	.section	".note.GNU-stack","",@progbits
	.addrsig
	.addrsig_sym __hip_cuid_98741c16cb48d939
	.amdgpu_metadata
---
amdhsa.kernels:
  - .args:
      - .actual_access:  read_only
        .address_space:  global
        .offset:         0
        .size:           8
        .value_kind:     global_buffer
      - .actual_access:  read_only
        .address_space:  global
        .offset:         8
        .size:           8
        .value_kind:     global_buffer
      - .actual_access:  read_only
        .address_space:  global
        .offset:         16
        .size:           8
        .value_kind:     global_buffer
      - .actual_access:  read_only
        .address_space:  global
        .offset:         24
        .size:           8
        .value_kind:     global_buffer
      - .actual_access:  read_only
        .address_space:  global
        .offset:         32
        .size:           8
        .value_kind:     global_buffer
      - .offset:         40
        .size:           8
        .value_kind:     by_value
      - .address_space:  global
        .offset:         48
        .size:           8
        .value_kind:     global_buffer
      - .address_space:  global
        .offset:         56
        .size:           8
        .value_kind:     global_buffer
      - .address_space:  global
        .offset:         64
        .size:           8
        .value_kind:     global_buffer
      - .address_space:  global
        .offset:         72
        .size:           8
        .value_kind:     global_buffer
      - .offset:         80
        .size:           4
        .value_kind:     by_value
      - .address_space:  global
        .offset:         88
        .size:           8
        .value_kind:     global_buffer
      - .address_space:  global
        .offset:         96
        .size:           8
        .value_kind:     global_buffer
    .group_segment_fixed_size: 15000
    .kernarg_segment_align: 8
    .kernarg_segment_size: 104
    .language:       OpenCL C
    .language_version:
      - 2
      - 0
    .max_flat_workgroup_size: 250
    .name:           bluestein_single_fwd_len1875_dim1_half_op_CI_CI
    .private_segment_fixed_size: 0
    .sgpr_count:     24
    .sgpr_spill_count: 0
    .symbol:         bluestein_single_fwd_len1875_dim1_half_op_CI_CI.kd
    .uniform_work_group_size: 1
    .uses_dynamic_stack: false
    .vgpr_count:     106
    .vgpr_spill_count: 0
    .wavefront_size: 64
amdhsa.target:   amdgcn-amd-amdhsa--gfx906
amdhsa.version:
  - 1
  - 2
...

	.end_amdgpu_metadata
